;; amdgpu-corpus repo=ROCm/rocFFT kind=compiled arch=gfx950 opt=O3
	.text
	.amdgcn_target "amdgcn-amd-amdhsa--gfx950"
	.amdhsa_code_object_version 6
	.protected	fft_rtc_back_len1176_factors_2_2_2_3_7_7_wgs_56_tpt_56_halfLds_dp_op_CI_CI_unitstride_sbrr_dirReg ; -- Begin function fft_rtc_back_len1176_factors_2_2_2_3_7_7_wgs_56_tpt_56_halfLds_dp_op_CI_CI_unitstride_sbrr_dirReg
	.globl	fft_rtc_back_len1176_factors_2_2_2_3_7_7_wgs_56_tpt_56_halfLds_dp_op_CI_CI_unitstride_sbrr_dirReg
	.p2align	8
	.type	fft_rtc_back_len1176_factors_2_2_2_3_7_7_wgs_56_tpt_56_halfLds_dp_op_CI_CI_unitstride_sbrr_dirReg,@function
fft_rtc_back_len1176_factors_2_2_2_3_7_7_wgs_56_tpt_56_halfLds_dp_op_CI_CI_unitstride_sbrr_dirReg: ; @fft_rtc_back_len1176_factors_2_2_2_3_7_7_wgs_56_tpt_56_halfLds_dp_op_CI_CI_unitstride_sbrr_dirReg
; %bb.0:
	s_load_dwordx4 s[4:7], s[0:1], 0x58
	s_load_dwordx4 s[8:11], s[0:1], 0x0
	;; [unrolled: 1-line block ×3, first 2 shown]
	v_mul_u32_u24_e32 v1, 0x493, v0
	v_add_u32_sdwa v6, s2, v1 dst_sel:DWORD dst_unused:UNUSED_PAD src0_sel:DWORD src1_sel:WORD_1
	v_mov_b32_e32 v2, 0
	s_waitcnt lgkmcnt(0)
	v_cmp_lt_u64_e64 s[2:3], s[10:11], 2
	v_mov_b32_e32 v7, v2
	s_and_b64 vcc, exec, s[2:3]
	v_mov_b64_e32 v[4:5], 0
	s_cbranch_vccnz .LBB0_8
; %bb.1:
	s_load_dwordx2 s[2:3], s[0:1], 0x10
	s_add_u32 s16, s14, 8
	s_addc_u32 s17, s15, 0
	s_add_u32 s18, s12, 8
	s_addc_u32 s19, s13, 0
	s_waitcnt lgkmcnt(0)
	s_add_u32 s20, s2, 8
	v_mov_b64_e32 v[4:5], 0
	s_addc_u32 s21, s3, 0
	s_mov_b64 s[22:23], 1
	v_mov_b64_e32 v[124:125], v[4:5]
.LBB0_2:                                ; =>This Inner Loop Header: Depth=1
	s_load_dwordx2 s[24:25], s[20:21], 0x0
                                        ; implicit-def: $vgpr126_vgpr127
	s_waitcnt lgkmcnt(0)
	v_or_b32_e32 v3, s25, v7
	v_cmp_ne_u64_e32 vcc, 0, v[2:3]
	s_and_saveexec_b64 s[2:3], vcc
	s_xor_b64 s[26:27], exec, s[2:3]
	s_cbranch_execz .LBB0_4
; %bb.3:                                ;   in Loop: Header=BB0_2 Depth=1
	v_cvt_f32_u32_e32 v1, s24
	v_cvt_f32_u32_e32 v3, s25
	s_sub_u32 s2, 0, s24
	s_subb_u32 s3, 0, s25
	v_fmac_f32_e32 v1, 0x4f800000, v3
	v_rcp_f32_e32 v1, v1
	s_nop 0
	v_mul_f32_e32 v1, 0x5f7ffffc, v1
	v_mul_f32_e32 v3, 0x2f800000, v1
	v_trunc_f32_e32 v3, v3
	v_fmac_f32_e32 v1, 0xcf800000, v3
	v_cvt_u32_f32_e32 v3, v3
	v_cvt_u32_f32_e32 v1, v1
	v_mul_lo_u32 v8, s2, v3
	v_mul_hi_u32 v10, s2, v1
	v_mul_lo_u32 v9, s3, v1
	v_add_u32_e32 v10, v10, v8
	v_mul_lo_u32 v12, s2, v1
	v_add_u32_e32 v13, v10, v9
	v_mul_hi_u32 v8, v1, v12
	v_mul_hi_u32 v11, v1, v13
	v_mul_lo_u32 v10, v1, v13
	v_mov_b32_e32 v9, v2
	v_lshl_add_u64 v[8:9], v[8:9], 0, v[10:11]
	v_mul_hi_u32 v11, v3, v12
	v_mul_lo_u32 v12, v3, v12
	v_add_co_u32_e32 v8, vcc, v8, v12
	v_mul_hi_u32 v10, v3, v13
	s_nop 0
	v_addc_co_u32_e32 v8, vcc, v9, v11, vcc
	v_mov_b32_e32 v9, v2
	s_nop 0
	v_addc_co_u32_e32 v11, vcc, 0, v10, vcc
	v_mul_lo_u32 v10, v3, v13
	v_lshl_add_u64 v[8:9], v[8:9], 0, v[10:11]
	v_add_co_u32_e32 v1, vcc, v1, v8
	v_mul_lo_u32 v10, s2, v1
	s_nop 0
	v_addc_co_u32_e32 v3, vcc, v3, v9, vcc
	v_mul_lo_u32 v8, s2, v3
	v_mul_hi_u32 v9, s2, v1
	v_add_u32_e32 v8, v9, v8
	v_mul_lo_u32 v9, s3, v1
	v_add_u32_e32 v12, v8, v9
	v_mul_hi_u32 v14, v3, v10
	v_mul_lo_u32 v15, v3, v10
	v_mul_hi_u32 v9, v1, v12
	v_mul_lo_u32 v8, v1, v12
	v_mul_hi_u32 v10, v1, v10
	v_mov_b32_e32 v11, v2
	v_lshl_add_u64 v[8:9], v[10:11], 0, v[8:9]
	v_add_co_u32_e32 v8, vcc, v8, v15
	v_mul_hi_u32 v13, v3, v12
	s_nop 0
	v_addc_co_u32_e32 v8, vcc, v9, v14, vcc
	v_mul_lo_u32 v10, v3, v12
	s_nop 0
	v_addc_co_u32_e32 v11, vcc, 0, v13, vcc
	v_mov_b32_e32 v9, v2
	v_lshl_add_u64 v[8:9], v[8:9], 0, v[10:11]
	v_add_co_u32_e32 v1, vcc, v1, v8
	v_mul_hi_u32 v10, v6, v1
	s_nop 0
	v_addc_co_u32_e32 v3, vcc, v3, v9, vcc
	v_mad_u64_u32 v[8:9], s[2:3], v6, v3, 0
	v_mov_b32_e32 v11, v2
	v_lshl_add_u64 v[8:9], v[10:11], 0, v[8:9]
	v_mad_u64_u32 v[12:13], s[2:3], v7, v1, 0
	v_add_co_u32_e32 v1, vcc, v8, v12
	v_mad_u64_u32 v[10:11], s[2:3], v7, v3, 0
	s_nop 0
	v_addc_co_u32_e32 v8, vcc, v9, v13, vcc
	v_mov_b32_e32 v9, v2
	s_nop 0
	v_addc_co_u32_e32 v11, vcc, 0, v11, vcc
	v_lshl_add_u64 v[8:9], v[8:9], 0, v[10:11]
	v_mul_lo_u32 v1, s25, v8
	v_mul_lo_u32 v3, s24, v9
	v_mad_u64_u32 v[10:11], s[2:3], s24, v8, 0
	v_add3_u32 v1, v11, v3, v1
	v_sub_u32_e32 v3, v7, v1
	v_mov_b32_e32 v11, s25
	v_sub_co_u32_e32 v14, vcc, v6, v10
	v_lshl_add_u64 v[12:13], v[8:9], 0, 1
	s_nop 0
	v_subb_co_u32_e64 v3, s[2:3], v3, v11, vcc
	v_subrev_co_u32_e64 v10, s[2:3], s24, v14
	v_subb_co_u32_e32 v1, vcc, v7, v1, vcc
	s_nop 0
	v_subbrev_co_u32_e64 v3, s[2:3], 0, v3, s[2:3]
	v_cmp_le_u32_e64 s[2:3], s25, v3
	v_cmp_le_u32_e32 vcc, s25, v1
	s_nop 0
	v_cndmask_b32_e64 v11, 0, -1, s[2:3]
	v_cmp_le_u32_e64 s[2:3], s24, v10
	s_nop 1
	v_cndmask_b32_e64 v10, 0, -1, s[2:3]
	v_cmp_eq_u32_e64 s[2:3], s25, v3
	s_nop 1
	v_cndmask_b32_e64 v3, v11, v10, s[2:3]
	v_lshl_add_u64 v[10:11], v[8:9], 0, 2
	v_cmp_ne_u32_e64 s[2:3], 0, v3
	s_nop 1
	v_cndmask_b32_e64 v3, v13, v11, s[2:3]
	v_cndmask_b32_e64 v11, 0, -1, vcc
	v_cmp_le_u32_e32 vcc, s24, v14
	s_nop 1
	v_cndmask_b32_e64 v13, 0, -1, vcc
	v_cmp_eq_u32_e32 vcc, s25, v1
	s_nop 1
	v_cndmask_b32_e32 v1, v11, v13, vcc
	v_cmp_ne_u32_e32 vcc, 0, v1
	v_cndmask_b32_e64 v1, v12, v10, s[2:3]
	s_nop 0
	v_cndmask_b32_e32 v127, v9, v3, vcc
	v_cndmask_b32_e32 v126, v8, v1, vcc
.LBB0_4:                                ;   in Loop: Header=BB0_2 Depth=1
	s_andn2_saveexec_b64 s[2:3], s[26:27]
	s_cbranch_execz .LBB0_6
; %bb.5:                                ;   in Loop: Header=BB0_2 Depth=1
	v_cvt_f32_u32_e32 v1, s24
	s_sub_i32 s26, 0, s24
	v_mov_b32_e32 v127, v2
	v_rcp_iflag_f32_e32 v1, v1
	s_nop 0
	v_mul_f32_e32 v1, 0x4f7ffffe, v1
	v_cvt_u32_f32_e32 v1, v1
	v_mul_lo_u32 v3, s26, v1
	v_mul_hi_u32 v3, v1, v3
	v_add_u32_e32 v1, v1, v3
	v_mul_hi_u32 v1, v6, v1
	v_mul_lo_u32 v3, v1, s24
	v_sub_u32_e32 v3, v6, v3
	v_add_u32_e32 v8, 1, v1
	v_subrev_u32_e32 v9, s24, v3
	v_cmp_le_u32_e32 vcc, s24, v3
	s_nop 1
	v_cndmask_b32_e32 v3, v3, v9, vcc
	v_cndmask_b32_e32 v1, v1, v8, vcc
	v_add_u32_e32 v8, 1, v1
	v_cmp_le_u32_e32 vcc, s24, v3
	s_nop 1
	v_cndmask_b32_e32 v126, v1, v8, vcc
.LBB0_6:                                ;   in Loop: Header=BB0_2 Depth=1
	s_or_b64 exec, exec, s[2:3]
	v_mad_u64_u32 v[8:9], s[2:3], v126, s24, 0
	s_load_dwordx2 s[2:3], s[18:19], 0x0
	v_mul_lo_u32 v1, v127, s24
	v_mul_lo_u32 v3, v126, s25
	s_load_dwordx2 s[24:25], s[16:17], 0x0
	s_add_u32 s22, s22, 1
	v_add3_u32 v1, v9, v3, v1
	v_sub_co_u32_e32 v3, vcc, v6, v8
	s_addc_u32 s23, s23, 0
	s_nop 0
	v_subb_co_u32_e32 v1, vcc, v7, v1, vcc
	s_add_u32 s16, s16, 8
	s_waitcnt lgkmcnt(0)
	v_mul_lo_u32 v6, s2, v1
	v_mul_lo_u32 v7, s3, v3
	v_mad_u64_u32 v[4:5], s[2:3], s2, v3, v[4:5]
	s_addc_u32 s17, s17, 0
	v_add3_u32 v5, v7, v5, v6
	v_mul_lo_u32 v1, s24, v1
	v_mul_lo_u32 v6, s25, v3
	v_mad_u64_u32 v[124:125], s[2:3], s24, v3, v[124:125]
	s_add_u32 s18, s18, 8
	v_add3_u32 v125, v6, v125, v1
	s_addc_u32 s19, s19, 0
	v_mov_b64_e32 v[6:7], s[10:11]
	s_add_u32 s20, s20, 8
	v_cmp_ge_u64_e32 vcc, s[22:23], v[6:7]
	s_addc_u32 s21, s21, 0
	s_cbranch_vccnz .LBB0_9
; %bb.7:                                ;   in Loop: Header=BB0_2 Depth=1
	v_mov_b64_e32 v[6:7], v[126:127]
	s_branch .LBB0_2
.LBB0_8:
	v_mov_b64_e32 v[124:125], v[4:5]
	v_mov_b64_e32 v[126:127], v[6:7]
.LBB0_9:
	s_load_dwordx2 s[18:19], s[0:1], 0x28
	s_lshl_b64 s[16:17], s[10:11], 3
	s_add_u32 s2, s14, s16
	s_addc_u32 s3, s15, s17
                                        ; implicit-def: $vgpr134
                                        ; implicit-def: $vgpr142
	s_waitcnt lgkmcnt(0)
	v_cmp_gt_u64_e64 s[0:1], s[18:19], v[126:127]
	v_cmp_le_u64_e32 vcc, s[18:19], v[126:127]
	s_and_saveexec_b64 s[10:11], vcc
	s_xor_b64 s[10:11], exec, s[10:11]
; %bb.10:
	s_mov_b32 s14, 0x4924925
	v_mul_hi_u32 v1, v0, s14
	v_mul_u32_u24_e32 v1, 56, v1
	v_sub_u32_e32 v134, v0, v1
	v_or_b32_e32 v142, 0x1c0, v134
                                        ; implicit-def: $vgpr0
                                        ; implicit-def: $vgpr4_vgpr5
; %bb.11:
	s_or_saveexec_b64 s[10:11], s[10:11]
	s_load_dwordx2 s[2:3], s[2:3], 0x0
                                        ; implicit-def: $vgpr64_vgpr65
                                        ; implicit-def: $vgpr60_vgpr61
                                        ; implicit-def: $vgpr50_vgpr51
                                        ; implicit-def: $vgpr46_vgpr47
                                        ; implicit-def: $vgpr56_vgpr57
                                        ; implicit-def: $vgpr42_vgpr43
                                        ; implicit-def: $vgpr34_vgpr35
                                        ; implicit-def: $vgpr18_vgpr19
                                        ; implicit-def: $vgpr30_vgpr31
                                        ; implicit-def: $vgpr26_vgpr27
                                        ; implicit-def: $vgpr22_vgpr23
                                        ; implicit-def: $vgpr38_vgpr39
                                        ; implicit-def: $vgpr10_vgpr11
                                        ; implicit-def: $vgpr68_vgpr69
                                        ; implicit-def: $vgpr14_vgpr15
                                        ; implicit-def: $vgpr90_vgpr91
                                        ; implicit-def: $vgpr6_vgpr7
                                        ; implicit-def: $vgpr94_vgpr95
                                        ; implicit-def: $vgpr2_vgpr3
                                        ; implicit-def: $vgpr98_vgpr99
                                        ; implicit-def: $vgpr106_vgpr107
                                        ; implicit-def: $vgpr102_vgpr103
	s_xor_b64 exec, exec, s[10:11]
	s_cbranch_execz .LBB0_15
; %bb.12:
	s_add_u32 s12, s12, s16
	s_addc_u32 s13, s13, s17
	s_load_dwordx2 s[12:13], s[12:13], 0x0
	s_mov_b32 s14, 0x4924925
	v_mov_b32_e32 v43, 0
	s_waitcnt lgkmcnt(0)
	v_mul_lo_u32 v1, s13, v126
	v_mul_lo_u32 v6, s12, v127
	v_mad_u64_u32 v[2:3], s[12:13], s12, v126, 0
	v_add3_u32 v3, v3, v6, v1
	v_mul_hi_u32 v1, v0, s14
	v_mul_u32_u24_e32 v1, 56, v1
	v_sub_u32_e32 v134, v0, v1
	v_lshl_add_u64 v[0:1], v[2:3], 4, s[4:5]
	v_lshl_add_u64 v[40:41], v[4:5], 4, v[0:1]
	v_lshlrev_b32_e32 v42, 4, v134
	v_lshl_add_u64 v[52:53], v[40:41], 0, v[42:43]
	s_movk_i32 s4, 0x2000
	v_add_co_u32_e32 v58, vcc, s4, v52
	s_movk_i32 s4, 0x3000
	s_nop 0
	v_addc_co_u32_e32 v59, vcc, 0, v53, vcc
	v_add_co_u32_e32 v44, vcc, s4, v52
	s_movk_i32 s4, 0x1000
	s_nop 0
	v_addc_co_u32_e32 v45, vcc, 0, v53, vcc
	v_add_co_u32_e32 v60, vcc, s4, v52
	v_or_b32_e32 v142, 0x1c0, v134
	s_nop 0
	v_addc_co_u32_e32 v61, vcc, 0, v53, vcc
	v_lshlrev_b32_e32 v42, 4, v142
	s_movk_i32 s4, 0x4000
	v_lshl_add_u64 v[62:63], v[40:41], 0, v[42:43]
	v_add_co_u32_e32 v64, vcc, s4, v52
	global_load_dwordx4 v[0:3], v[58:59], off offset:2112
	global_load_dwordx4 v[4:7], v[58:59], off offset:3008
	;; [unrolled: 1-line block ×10, first 2 shown]
	v_addc_co_u32_e32 v65, vcc, 0, v53, vcc
	global_load_dwordx4 v[40:43], v[62:63], off
	global_load_dwordx4 v[44:47], v[60:61], off offset:3968
	global_load_dwordx4 v[54:57], v[64:65], off offset:192
	;; [unrolled: 1-line block ×3, first 2 shown]
	global_load_dwordx4 v[100:103], v[52:53], off
	global_load_dwordx4 v[96:99], v[52:53], off offset:896
	global_load_dwordx4 v[92:95], v[52:53], off offset:1792
	;; [unrolled: 1-line block ×5, first 2 shown]
	v_cmp_gt_u32_e32 vcc, 28, v134
                                        ; implicit-def: $vgpr58_vgpr59
                                        ; implicit-def: $vgpr62_vgpr63
	s_and_saveexec_b64 s[4:5], vcc
	s_cbranch_execz .LBB0_14
; %bb.13:
	v_add_co_u32_e32 v70, vcc, 0x2000, v52
	s_nop 1
	v_addc_co_u32_e32 v71, vcc, 0, v53, vcc
	v_add_co_u32_e32 v52, vcc, 0x4000, v52
	s_nop 1
	v_addc_co_u32_e32 v53, vcc, 0, v53, vcc
	global_load_dwordx4 v[58:61], v[70:71], off offset:768
	global_load_dwordx4 v[62:65], v[52:53], off offset:1984
.LBB0_14:
	s_or_b64 exec, exec, s[4:5]
.LBB0_15:
	s_or_b64 exec, exec, s[10:11]
	s_waitcnt vmcnt(1)
	v_add_f64 v[72:73], v[100:101], -v[104:105]
	v_fma_f64 v[70:71], v[100:101], 2.0, -v[72:73]
	v_lshl_add_u32 v100, v134, 4, 0
	ds_write_b128 v100, v[70:73]
	v_add_f64 v[72:73], v[96:97], -v[0:1]
	v_add_u32_e32 v137, 56, v134
	v_fma_f64 v[70:71], v[96:97], 2.0, -v[72:73]
	v_lshl_add_u32 v96, v137, 4, 0
	ds_write_b128 v96, v[70:73]
	v_add_f64 v[72:73], v[92:93], -v[4:5]
	v_add_u32_e32 v136, 0x70, v134
	;; [unrolled: 5-line block ×3, first 2 shown]
	v_fma_f64 v[70:71], v[88:89], 2.0, -v[72:73]
	v_lshl_add_u32 v5, v138, 4, 0
	ds_write_b128 v5, v[70:73]
	s_waitcnt vmcnt(0)
	v_add_f64 v[72:73], v[66:67], -v[8:9]
	v_add_u32_e32 v139, 0xe0, v134
	v_fma_f64 v[70:71], v[66:67], 2.0, -v[72:73]
	v_lshl_add_u32 v8, v139, 4, 0
	ds_write_b128 v8, v[70:73]
	v_add_f64 v[72:73], v[36:37], -v[20:21]
	v_add_u32_e32 v140, 0x118, v134
	v_fma_f64 v[70:71], v[36:37], 2.0, -v[72:73]
	v_lshl_add_u32 v9, v140, 4, 0
	ds_write_b128 v9, v[70:73]
	;; [unrolled: 5-line block ×3, first 2 shown]
	v_add_f64 v[72:73], v[16:17], -v[32:33]
	v_add_u32_e32 v29, 0x188, v134
	v_add_f64 v[54:55], v[40:41], -v[54:55]
	v_fma_f64 v[70:71], v[16:17], 2.0, -v[72:73]
	v_lshl_add_u32 v13, v29, 4, 0
	v_fma_f64 v[52:53], v[40:41], 2.0, -v[54:55]
	v_lshl_add_u32 v32, v142, 4, 0
	ds_write_b128 v13, v[70:73]
	ds_write_b128 v32, v[52:55]
	v_add_f64 v[54:55], v[44:45], -v[48:49]
	v_add_u32_e32 v33, 0x1f8, v134
	v_fma_f64 v[52:53], v[44:45], 2.0, -v[54:55]
	v_lshl_add_u32 v17, v33, 4, 0
	ds_write_b128 v17, v[52:55]
	v_add_f64 v[54:55], v[58:59], -v[62:63]
	v_add_u32_e32 v28, 0x230, v134
	v_fma_f64 v[52:53], v[58:59], 2.0, -v[54:55]
	v_cmp_gt_u32_e32 vcc, 28, v134
	v_lshl_add_u32 v16, v28, 4, 0
	s_and_saveexec_b64 s[4:5], vcc
	s_cbranch_execz .LBB0_17
; %bb.16:
	ds_write_b128 v16, v[52:55]
.LBB0_17:
	s_or_b64 exec, exec, s[4:5]
	v_lshl_add_u32 v135, v134, 3, 0
	v_add_u32_e32 v0, 0xc00, v135
	s_waitcnt lgkmcnt(0)
	; wave barrier
	s_waitcnt lgkmcnt(0)
	ds_read2_b64 v[86:89], v0 offset0:120 offset1:204
	v_add_u32_e32 v0, 0x1000, v135
	ds_read2_b64 v[108:111], v135 offset1:56
	ds_read2_b64 v[82:85], v0 offset0:132 offset1:188
	ds_read2_b64 v[112:115], v135 offset0:112 offset1:168
	v_add_u32_e32 v0, 0x1400, v135
	ds_read2_b64 v[70:73], v0 offset0:116 offset1:172
	v_add_u32_e32 v0, 0x400, v135
	;; [unrolled: 2-line block ×5, first 2 shown]
	ds_read2_b64 v[78:81], v0 offset0:84 offset1:140
	v_lshlrev_b32_e32 v0, 3, v142
	v_sub_u32_e32 v1, v32, v0
	ds_read_b64 v[24:25], v1
	ds_read_b64 v[128:129], v135 offset:8736
	s_and_saveexec_b64 s[4:5], vcc
	s_cbranch_execz .LBB0_19
; %bb.18:
	ds_read_b64 v[52:53], v135 offset:4480
	ds_read_b64 v[54:55], v135 offset:9184
.LBB0_19:
	s_or_b64 exec, exec, s[4:5]
	v_add_f64 v[104:105], v[102:103], -v[106:107]
	v_add_f64 v[132:133], v[98:99], -v[2:3]
	;; [unrolled: 1-line block ×4, first 2 shown]
	v_sub_u32_e32 v36, 0, v0
	v_fma_f64 v[102:103], v[102:103], 2.0, -v[104:105]
	v_add_f64 v[146:147], v[94:95], -v[6:7]
	v_add_f64 v[92:93], v[90:91], -v[14:15]
	v_fma_f64 v[148:149], v[68:69], 2.0, -v[150:151]
	v_add_f64 v[22:23], v[38:39], -v[22:23]
	v_add_f64 v[40:41], v[26:27], -v[30:31]
	;; [unrolled: 1-line block ×5, first 2 shown]
	v_fma_f64 v[0:1], v[60:61], 2.0, -v[2:3]
	v_fma_f64 v[130:131], v[98:99], 2.0, -v[132:133]
	;; [unrolled: 1-line block ×9, first 2 shown]
	s_waitcnt lgkmcnt(0)
	; wave barrier
	s_waitcnt lgkmcnt(0)
	ds_write_b128 v100, v[102:105]
	ds_write_b128 v96, v[130:133]
	;; [unrolled: 1-line block ×10, first 2 shown]
	s_and_saveexec_b64 s[4:5], vcc
	s_cbranch_execz .LBB0_21
; %bb.20:
	ds_write_b128 v16, v[0:3]
.LBB0_21:
	s_or_b64 exec, exec, s[4:5]
	v_add_u32_e32 v4, 0xc00, v135
	v_add_u32_e32 v12, 0x1000, v135
	v_add_u32_e32 v16, 0x1400, v135
	v_add_u32_e32 v20, 0x1800, v135
	s_waitcnt lgkmcnt(0)
	; wave barrier
	s_waitcnt lgkmcnt(0)
	ds_read2_b64 v[8:11], v135 offset1:56
	ds_read2_b64 v[4:7], v4 offset0:120 offset1:204
	ds_read2_b64 v[60:63], v12 offset0:132 offset1:188
	;; [unrolled: 1-line block ×4, first 2 shown]
	v_add_u32_e32 v16, 0x400, v135
	ds_read2_b64 v[48:51], v20 offset0:100 offset1:156
	v_add_u32_e32 v20, 0x800, v135
	v_add_u32_e32 v26, 0x1c00, v135
	;; [unrolled: 1-line block ×3, first 2 shown]
	ds_read2_b64 v[16:19], v16 offset0:96 offset1:152
	ds_read2_b64 v[20:23], v20 offset0:80 offset1:136
	;; [unrolled: 1-line block ×3, first 2 shown]
	ds_read_b64 v[130:131], v152
	ds_read_b64 v[132:133], v135 offset:8736
	v_lshlrev_b32_e32 v143, 1, v134
	v_lshlrev_b32_e32 v144, 1, v137
	;; [unrolled: 1-line block ×10, first 2 shown]
	s_and_saveexec_b64 s[4:5], vcc
	s_cbranch_execz .LBB0_23
; %bb.22:
	ds_read_b64 v[0:1], v135 offset:4480
	ds_read_b64 v[2:3], v135 offset:9184
.LBB0_23:
	s_or_b64 exec, exec, s[4:5]
	v_and_b32_e32 v153, 1, v134
	v_lshlrev_b32_e32 v26, 4, v153
	global_load_dwordx4 v[98:101], v26, s[8:9]
	s_movk_i32 s4, 0x7c
	s_movk_i32 s5, 0xfc
	;; [unrolled: 1-line block ×6, first 2 shown]
	v_and_or_b32 v26, v143, s4, v153
	v_and_or_b32 v27, v144, s5, v153
	;; [unrolled: 1-line block ×9, first 2 shown]
	v_lshl_add_u32 v154, v26, 3, 0
	v_lshl_add_u32 v155, v27, 3, 0
	;; [unrolled: 1-line block ×9, first 2 shown]
	v_and_or_b32 v29, v145, s10, v153
	s_waitcnt lgkmcnt(0)
	; wave barrier
	s_waitcnt lgkmcnt(0)
	v_lshl_add_u32 v156, v29, 3, 0
	s_waitcnt vmcnt(0)
	v_mul_f64 v[26:27], v[6:7], v[100:101]
	v_mul_f64 v[30:31], v[60:61], v[100:101]
	;; [unrolled: 1-line block ×11, first 2 shown]
	v_fmac_f64_e32 v[26:27], v[88:89], v[98:99]
	v_fmac_f64_e32 v[30:31], v[82:83], v[98:99]
	;; [unrolled: 1-line block ×11, first 2 shown]
	v_add_f64 v[26:27], v[108:109], -v[26:27]
	v_add_f64 v[30:31], v[110:111], -v[30:31]
	;; [unrolled: 1-line block ×11, first 2 shown]
	v_fma_f64 v[90:91], v[108:109], 2.0, -v[26:27]
	v_fma_f64 v[92:93], v[110:111], 2.0, -v[30:31]
	;; [unrolled: 1-line block ×11, first 2 shown]
	ds_write2_b64 v154, v[90:91], v[26:27] offset1:2
	ds_write2_b64 v155, v[92:93], v[30:31] offset1:2
	;; [unrolled: 1-line block ×10, first 2 shown]
	v_lshlrev_b32_e32 v110, 1, v28
	s_and_saveexec_b64 s[4:5], vcc
	s_cbranch_execz .LBB0_25
; %bb.24:
	s_movk_i32 s10, 0x4fc
	v_and_or_b32 v24, v110, s10, v153
	v_lshl_add_u32 v24, v24, 3, 0
	ds_write2_b64 v24, v[86:87], v[68:69] offset1:2
.LBB0_25:
	s_or_b64 exec, exec, s[4:5]
	v_add_u32_e32 v24, 0xc00, v135
	s_waitcnt lgkmcnt(0)
	; wave barrier
	s_waitcnt lgkmcnt(0)
	ds_read2_b64 v[40:43], v24 offset0:120 offset1:204
	v_add_u32_e32 v24, 0x1000, v135
	v_add_u32_e32 v28, 0x400, v135
	;; [unrolled: 1-line block ×3, first 2 shown]
	ds_read2_b64 v[64:67], v135 offset1:56
	ds_read2_b64 v[36:39], v24 offset0:132 offset1:188
	ds_read2_b64 v[90:93], v135 offset0:112 offset1:168
	v_add_u32_e32 v24, 0x1400, v135
	ds_read2_b64 v[94:97], v28 offset0:96 offset1:152
	v_add_u32_e32 v28, 0x1800, v135
	;; [unrolled: 2-line block ×3, first 2 shown]
	ds_read2_b64 v[24:27], v24 offset0:116 offset1:172
	ds_read2_b64 v[28:31], v28 offset0:100 offset1:156
	;; [unrolled: 1-line block ×3, first 2 shown]
	ds_read_b64 v[108:109], v152
	ds_read_b64 v[106:107], v135 offset:8736
	s_and_saveexec_b64 s[4:5], vcc
	s_cbranch_execz .LBB0_27
; %bb.26:
	ds_read_b64 v[86:87], v135 offset:4480
	ds_read_b64 v[68:69], v135 offset:9184
.LBB0_27:
	s_or_b64 exec, exec, s[4:5]
	v_mul_f64 v[52:53], v[88:89], v[100:101]
	v_fma_f64 v[6:7], v[6:7], v[98:99], -v[52:53]
	v_mul_f64 v[52:53], v[82:83], v[100:101]
	v_fma_f64 v[52:53], v[60:61], v[98:99], -v[52:53]
	;; [unrolled: 2-line block ×9, first 2 shown]
	v_mul_f64 v[62:63], v[128:129], v[100:101]
	v_mul_f64 v[54:55], v[54:55], v[100:101]
	v_fma_f64 v[62:63], v[132:133], v[98:99], -v[62:63]
	v_fma_f64 v[2:3], v[2:3], v[98:99], -v[54:55]
	v_add_f64 v[6:7], v[8:9], -v[6:7]
	v_add_f64 v[72:73], v[4:5], -v[62:63]
	;; [unrolled: 1-line block ×3, first 2 shown]
	v_fma_f64 v[8:9], v[8:9], 2.0, -v[6:7]
	v_add_f64 v[52:53], v[10:11], -v[52:53]
	v_add_f64 v[54:55], v[12:13], -v[60:61]
	;; [unrolled: 1-line block ×8, first 2 shown]
	v_fma_f64 v[60:61], v[0:1], 2.0, -v[62:63]
	v_fma_f64 v[10:11], v[10:11], 2.0, -v[52:53]
	;; [unrolled: 1-line block ×10, first 2 shown]
	s_waitcnt lgkmcnt(0)
	; wave barrier
	s_waitcnt lgkmcnt(0)
	ds_write2_b64 v154, v[8:9], v[6:7] offset1:2
	ds_write2_b64 v155, v[10:11], v[52:53] offset1:2
	;; [unrolled: 1-line block ×10, first 2 shown]
	s_and_saveexec_b64 s[4:5], vcc
	s_cbranch_execz .LBB0_29
; %bb.28:
	s_movk_i32 s10, 0x4fc
	v_and_or_b32 v0, v110, s10, v153
	v_lshl_add_u32 v0, v0, 3, 0
	ds_write2_b64 v0, v[60:61], v[62:63] offset1:2
.LBB0_29:
	s_or_b64 exec, exec, s[4:5]
	v_add_u32_e32 v0, 0xc00, v135
	v_add_u32_e32 v8, 0x1000, v135
	;; [unrolled: 1-line block ×3, first 2 shown]
	s_waitcnt lgkmcnt(0)
	; wave barrier
	s_waitcnt lgkmcnt(0)
	ds_read2_b64 v[4:7], v135 offset1:56
	ds_read2_b64 v[0:3], v0 offset0:120 offset1:204
	ds_read2_b64 v[56:59], v8 offset0:132 offset1:188
	;; [unrolled: 1-line block ×3, first 2 shown]
	v_add_u32_e32 v12, 0x1400, v135
	ds_read2_b64 v[48:51], v16 offset0:100 offset1:156
	v_add_u32_e32 v16, 0x800, v135
	ds_read2_b64 v[44:47], v12 offset0:116 offset1:172
	;; [unrolled: 2-line block ×4, first 2 shown]
	ds_read2_b64 v[52:55], v16 offset0:84 offset1:140
	ds_read_b64 v[70:71], v152
	ds_read_b64 v[72:73], v135 offset:8736
	s_and_saveexec_b64 s[4:5], vcc
	s_cbranch_execz .LBB0_31
; %bb.30:
	ds_read_b64 v[60:61], v135 offset:4480
	ds_read_b64 v[62:63], v135 offset:9184
.LBB0_31:
	s_or_b64 exec, exec, s[4:5]
	v_and_b32_e32 v74, 3, v134
	v_lshlrev_b32_e32 v16, 4, v74
	global_load_dwordx4 v[16:19], v16, s[8:9] offset:32
	s_movk_i32 s4, 0x78
	s_movk_i32 s5, 0xf8
	;; [unrolled: 1-line block ×6, first 2 shown]
	v_and_or_b32 v75, v143, s4, v74
	v_and_or_b32 v76, v144, s5, v74
	;; [unrolled: 1-line block ×10, first 2 shown]
	v_lshl_add_u32 v75, v75, 3, 0
	v_lshl_add_u32 v76, v76, 3, 0
	;; [unrolled: 1-line block ×10, first 2 shown]
	s_waitcnt lgkmcnt(0)
	; wave barrier
	s_waitcnt vmcnt(0) lgkmcnt(0)
	v_mul_f64 v[88:89], v[2:3], v[18:19]
	v_mul_f64 v[98:99], v[56:57], v[18:19]
	;; [unrolled: 1-line block ×10, first 2 shown]
	v_fmac_f64_e32 v[88:89], v[42:43], v[16:17]
	v_fmac_f64_e32 v[98:99], v[36:37], v[16:17]
	;; [unrolled: 1-line block ×10, first 2 shown]
	v_add_f64 v[88:89], v[64:65], -v[88:89]
	v_add_f64 v[98:99], v[66:67], -v[98:99]
	;; [unrolled: 1-line block ×10, first 2 shown]
	v_fma_f64 v[64:65], v[64:65], 2.0, -v[88:89]
	v_fma_f64 v[66:67], v[66:67], 2.0, -v[98:99]
	;; [unrolled: 1-line block ×10, first 2 shown]
	ds_write2_b64 v75, v[64:65], v[88:89] offset1:4
	ds_write2_b64 v76, v[66:67], v[98:99] offset1:4
	;; [unrolled: 1-line block ×10, first 2 shown]
	s_and_saveexec_b64 s[4:5], vcc
	s_cbranch_execz .LBB0_33
; %bb.32:
	s_movk_i32 s10, 0x4f8
	v_and_or_b32 v40, v110, s10, v74
	v_lshl_add_u32 v66, v40, 3, 0
	v_mul_f64 v[40:41], v[62:63], v[18:19]
	v_fmac_f64_e32 v[40:41], v[68:69], v[16:17]
	v_add_f64 v[40:41], v[86:87], -v[40:41]
	v_fma_f64 v[64:65], v[86:87], 2.0, -v[40:41]
	ds_write2_b64 v66, v[64:65], v[40:41] offset1:4
.LBB0_33:
	s_or_b64 exec, exec, s[4:5]
	v_mul_f64 v[40:41], v[42:43], v[18:19]
	v_fma_f64 v[2:3], v[2:3], v[16:17], -v[40:41]
	v_mul_f64 v[38:39], v[38:39], v[18:19]
	v_mul_f64 v[24:25], v[24:25], v[18:19]
	;; [unrolled: 1-line block ×7, first 2 shown]
	v_fma_f64 v[38:39], v[58:59], v[16:17], -v[38:39]
	v_fma_f64 v[24:25], v[44:45], v[16:17], -v[24:25]
	;; [unrolled: 1-line block ×4, first 2 shown]
	v_mul_f64 v[30:31], v[30:31], v[18:19]
	v_mul_f64 v[32:33], v[32:33], v[18:19]
	v_fma_f64 v[34:35], v[54:55], v[16:17], -v[34:35]
	v_fma_f64 v[40:41], v[72:73], v[16:17], -v[40:41]
	v_fma_f64 v[36:37], v[56:57], v[16:17], -v[36:37]
	v_fma_f64 v[30:31], v[50:51], v[16:17], -v[30:31]
	v_fma_f64 v[32:33], v[52:53], v[16:17], -v[32:33]
	v_add_f64 v[88:89], v[8:9], -v[38:39]
	v_add_f64 v[92:93], v[10:11], -v[24:25]
	;; [unrolled: 1-line block ×6, first 2 shown]
	v_add_u32_e32 v67, 0x800, v135
	v_add_u32_e32 v66, 0x1800, v135
	v_add_f64 v[42:43], v[4:5], -v[2:3]
	v_add_f64 v[46:47], v[6:7], -v[36:37]
	v_fma_f64 v[90:91], v[8:9], 2.0, -v[88:89]
	v_fma_f64 v[94:95], v[10:11], 2.0, -v[92:93]
	;; [unrolled: 1-line block ×4, first 2 shown]
	v_add_f64 v[30:31], v[20:21], -v[30:31]
	v_add_f64 v[32:33], v[22:23], -v[32:33]
	v_fma_f64 v[106:107], v[70:71], 2.0, -v[34:35]
	v_fma_f64 v[108:109], v[0:1], 2.0, -v[40:41]
	s_waitcnt lgkmcnt(0)
	; wave barrier
	s_waitcnt lgkmcnt(0)
	ds_read2_b64 v[12:15], v135 offset1:56
	ds_read2_b64 v[0:3], v67 offset0:80 offset1:136
	ds_read2_b64 v[56:59], v66 offset0:16 offset1:72
	;; [unrolled: 1-line block ×5, first 2 shown]
	v_add_u32_e32 v70, 0x1000, v135
	v_add_u32_e32 v71, 0x400, v135
	;; [unrolled: 1-line block ×3, first 2 shown]
	v_fma_f64 v[44:45], v[4:5], 2.0, -v[42:43]
	v_fma_f64 v[86:87], v[6:7], 2.0, -v[46:47]
	;; [unrolled: 1-line block ×4, first 2 shown]
	ds_read2_b64 v[36:39], v70 offset0:48 offset1:104
	ds_read2_b64 v[4:7], v71 offset0:96 offset1:152
	;; [unrolled: 1-line block ×4, first 2 shown]
	ds_read_b64 v[64:65], v135 offset:8960
	s_waitcnt lgkmcnt(0)
	; wave barrier
	s_waitcnt lgkmcnt(0)
	ds_write2_b64 v75, v[44:45], v[42:43] offset1:4
	ds_write2_b64 v76, v[86:87], v[46:47] offset1:4
	;; [unrolled: 1-line block ×10, first 2 shown]
	s_and_saveexec_b64 s[4:5], vcc
	s_cbranch_execz .LBB0_35
; %bb.34:
	v_mul_f64 v[18:19], v[68:69], v[18:19]
	v_fma_f64 v[16:17], v[62:63], v[16:17], -v[18:19]
	s_movk_i32 s10, 0x4f8
	v_add_f64 v[16:17], v[60:61], -v[16:17]
	v_and_or_b32 v28, v110, s10, v74
	v_fma_f64 v[18:19], v[60:61], 2.0, -v[16:17]
	v_lshl_add_u32 v28, v28, 3, 0
	ds_write2_b64 v28, v[18:19], v[16:17] offset1:4
.LBB0_35:
	s_or_b64 exec, exec, s[4:5]
	v_and_b32_e32 v73, 7, v134
	v_lshlrev_b32_e32 v28, 5, v73
	s_waitcnt lgkmcnt(0)
	; wave barrier
	s_waitcnt lgkmcnt(0)
	global_load_dwordx4 v[16:19], v28, s[8:9] offset:96
	global_load_dwordx4 v[60:63], v28, s[8:9] offset:112
	ds_read2_b64 v[40:43], v135 offset1:56
	ds_read2_b64 v[28:31], v67 offset0:80 offset1:136
	ds_read2_b64 v[74:77], v66 offset0:16 offset1:72
	;; [unrolled: 1-line block ×9, first 2 shown]
	ds_read_b64 v[68:69], v135 offset:8960
	s_mov_b32 s4, 0xe8584caa
	s_mov_b32 s5, 0xbfebb67a
	;; [unrolled: 1-line block ×4, first 2 shown]
	s_waitcnt lgkmcnt(0)
	; wave barrier
	s_waitcnt lgkmcnt(0)
	s_mov_b32 s12, 0x37e14327
	s_mov_b32 s16, 0x36b3c0b5
	;; [unrolled: 1-line block ×15, first 2 shown]
	s_waitcnt vmcnt(1)
	v_mul_f64 v[98:99], v[30:31], v[18:19]
	s_waitcnt vmcnt(0)
	v_mul_f64 v[102:103], v[74:75], v[62:63]
	v_mul_f64 v[100:101], v[2:3], v[18:19]
	;; [unrolled: 1-line block ×4, first 2 shown]
	v_fmac_f64_e32 v[98:99], v[2:3], v[16:17]
	v_fmac_f64_e32 v[102:103], v[56:57], v[60:61]
	v_mul_f64 v[106:107], v[78:79], v[18:19]
	v_mul_f64 v[108:109], v[52:53], v[18:19]
	;; [unrolled: 1-line block ×23, first 2 shown]
	v_fma_f64 v[2:3], v[30:31], v[16:17], -v[100:101]
	v_fma_f64 v[30:31], v[74:75], v[60:61], -v[104:105]
	v_fmac_f64_e32 v[110:111], v[58:59], v[60:61]
	v_add_f64 v[58:59], v[98:99], v[102:103]
	v_fmac_f64_e32 v[106:107], v[52:53], v[16:17]
	v_fma_f64 v[52:53], v[78:79], v[16:17], -v[108:109]
	v_fma_f64 v[56:57], v[76:77], v[60:61], -v[112:113]
	v_fmac_f64_e32 v[114:115], v[54:55], v[16:17]
	v_fma_f64 v[54:55], v[80:81], v[16:17], -v[116:117]
	v_fmac_f64_e32 v[118:119], v[48:49], v[60:61]
	;; [unrolled: 2-line block ×10, first 2 shown]
	v_fma_f64 v[18:19], v[68:69], v[60:61], -v[62:63]
	v_add_f64 v[22:23], v[12:13], v[98:99]
	v_add_f64 v[60:61], v[2:3], -v[30:31]
	v_add_f64 v[62:63], v[40:41], v[2:3]
	v_add_f64 v[2:3], v[2:3], v[30:31]
	v_fma_f64 v[12:13], -0.5, v[58:59], v[12:13]
	v_add_f64 v[58:59], v[62:63], v[30:31]
	v_fma_f64 v[30:31], s[4:5], v[60:61], v[12:13]
	v_fmac_f64_e32 v[12:13], s[10:11], v[60:61]
	v_fma_f64 v[60:61], -0.5, v[2:3], v[40:41]
	v_add_f64 v[2:3], v[98:99], -v[102:103]
	v_add_f64 v[40:41], v[106:107], v[110:111]
	v_fma_f64 v[62:63], s[10:11], v[2:3], v[60:61]
	v_fmac_f64_e32 v[60:61], s[4:5], v[2:3]
	v_add_f64 v[2:3], v[14:15], v[106:107]
	v_fmac_f64_e32 v[14:15], -0.5, v[40:41]
	v_add_f64 v[40:41], v[52:53], -v[56:57]
	v_fma_f64 v[64:65], s[4:5], v[40:41], v[14:15]
	v_fmac_f64_e32 v[14:15], s[10:11], v[40:41]
	v_add_f64 v[40:41], v[42:43], v[52:53]
	v_add_f64 v[68:69], v[40:41], v[56:57]
	;; [unrolled: 1-line block ×3, first 2 shown]
	v_fmac_f64_e32 v[42:43], -0.5, v[40:41]
	v_add_f64 v[40:41], v[106:107], -v[110:111]
	v_add_f64 v[52:53], v[114:115], v[118:119]
	v_fma_f64 v[56:57], s[10:11], v[40:41], v[42:43]
	v_fmac_f64_e32 v[42:43], s[4:5], v[40:41]
	v_add_f64 v[40:41], v[8:9], v[114:115]
	v_fma_f64 v[8:9], -0.5, v[52:53], v[8:9]
	v_add_f64 v[52:53], v[54:55], -v[48:49]
	v_fma_f64 v[74:75], s[4:5], v[52:53], v[8:9]
	v_fmac_f64_e32 v[8:9], s[10:11], v[52:53]
	v_add_f64 v[52:53], v[44:45], v[54:55]
	v_add_f64 v[76:77], v[52:53], v[48:49]
	;; [unrolled: 1-line block ×3, first 2 shown]
	v_fma_f64 v[44:45], -0.5, v[48:49], v[44:45]
	v_add_f64 v[48:49], v[114:115], -v[118:119]
	v_add_f64 v[52:53], v[122:123], v[130:131]
	v_fma_f64 v[54:55], s[10:11], v[48:49], v[44:45]
	v_fmac_f64_e32 v[44:45], s[4:5], v[48:49]
	v_add_f64 v[48:49], v[10:11], v[122:123]
	v_fmac_f64_e32 v[10:11], -0.5, v[52:53]
	v_add_f64 v[52:53], v[36:37], -v[50:51]
	v_fma_f64 v[78:79], s[4:5], v[52:53], v[10:11]
	v_fmac_f64_e32 v[10:11], s[10:11], v[52:53]
	v_add_f64 v[52:53], v[46:47], v[36:37]
	v_add_f64 v[36:37], v[36:37], v[50:51]
	;; [unrolled: 1-line block ×3, first 2 shown]
	v_fmac_f64_e32 v[46:47], -0.5, v[36:37]
	v_add_f64 v[36:37], v[122:123], -v[130:131]
	v_add_f64 v[50:51], v[142:143], v[146:147]
	v_fma_f64 v[82:83], s[10:11], v[36:37], v[46:47]
	v_fmac_f64_e32 v[46:47], s[4:5], v[36:37]
	v_add_f64 v[36:37], v[4:5], v[142:143]
	v_fma_f64 v[4:5], -0.5, v[50:51], v[4:5]
	v_add_f64 v[50:51], v[38:39], -v[24:25]
	v_fma_f64 v[52:53], s[4:5], v[50:51], v[4:5]
	v_fmac_f64_e32 v[4:5], s[10:11], v[50:51]
	v_add_f64 v[50:51], v[32:33], v[38:39]
	v_add_f64 v[84:85], v[50:51], v[24:25]
	;; [unrolled: 1-line block ×3, first 2 shown]
	v_fma_f64 v[86:87], -0.5, v[24:25], v[32:33]
	v_add_f64 v[24:25], v[142:143], -v[146:147]
	v_add_f64 v[32:33], v[150:151], v[154:155]
	v_fma_f64 v[88:89], s[10:11], v[24:25], v[86:87]
	v_fmac_f64_e32 v[86:87], s[4:5], v[24:25]
	v_add_f64 v[24:25], v[6:7], v[150:151]
	v_fmac_f64_e32 v[6:7], -0.5, v[32:33]
	v_add_f64 v[32:33], v[20:21], -v[26:27]
	v_fma_f64 v[38:39], s[4:5], v[32:33], v[6:7]
	v_fmac_f64_e32 v[6:7], s[10:11], v[32:33]
	v_add_f64 v[32:33], v[34:35], v[20:21]
	v_add_f64 v[20:21], v[20:21], v[26:27]
	;; [unrolled: 1-line block ×3, first 2 shown]
	v_fmac_f64_e32 v[34:35], -0.5, v[20:21]
	v_add_f64 v[20:21], v[150:151], -v[154:155]
	v_add_f64 v[26:27], v[158:159], v[160:161]
	v_fma_f64 v[92:93], s[10:11], v[20:21], v[34:35]
	v_fmac_f64_e32 v[34:35], s[4:5], v[20:21]
	v_add_f64 v[20:21], v[0:1], v[158:159]
	v_fmac_f64_e32 v[0:1], -0.5, v[26:27]
	v_add_f64 v[26:27], v[16:17], -v[18:19]
	v_fma_f64 v[32:33], s[4:5], v[26:27], v[0:1]
	v_fmac_f64_e32 v[0:1], s[10:11], v[26:27]
	v_add_f64 v[26:27], v[28:29], v[16:17]
	v_add_f64 v[16:17], v[16:17], v[18:19]
	v_fmac_f64_e32 v[28:29], -0.5, v[16:17]
	v_add_f64 v[16:17], v[158:159], -v[160:161]
	v_fma_f64 v[96:97], s[10:11], v[16:17], v[28:29]
	v_fmac_f64_e32 v[28:29], s[4:5], v[16:17]
	v_lshrrev_b32_e32 v16, 3, v134
	v_mul_u32_u24_e32 v16, 24, v16
	v_or_b32_e32 v16, v16, v73
	v_add_f64 v[22:23], v[22:23], v[102:103]
	v_lshl_add_u32 v98, v16, 3, 0
	ds_write2_b64 v98, v[22:23], v[30:31] offset1:8
	ds_write_b64 v98, v[12:13] offset:128
	v_lshrrev_b32_e32 v12, 3, v137
	v_mul_u32_u24_e32 v12, 24, v12
	v_or_b32_e32 v12, v12, v73
	v_add_f64 v[2:3], v[2:3], v[110:111]
	v_lshl_add_u32 v99, v12, 3, 0
	ds_write2_b64 v99, v[2:3], v[64:65] offset1:8
	ds_write_b64 v99, v[14:15] offset:128
	v_lshrrev_b32_e32 v2, 3, v136
	v_mul_u32_u24_e32 v2, 24, v2
	v_or_b32_e32 v2, v2, v73
	v_lshl_add_u32 v64, v2, 3, 0
	v_lshrrev_b32_e32 v2, 3, v138
	v_mul_u32_u24_e32 v2, 24, v2
	v_or_b32_e32 v2, v2, v73
	v_lshl_add_u32 v65, v2, 3, 0
	v_lshrrev_b32_e32 v2, 3, v139
	v_mul_u32_u24_e32 v2, 24, v2
	v_add_f64 v[40:41], v[40:41], v[118:119]
	v_or_b32_e32 v2, v2, v73
	ds_write2_b64 v64, v[40:41], v[74:75] offset1:8
	ds_write_b64 v64, v[8:9] offset:128
	v_lshl_add_u32 v74, v2, 3, 0
	v_lshrrev_b32_e32 v2, 3, v140
	v_mul_u32_u24_e32 v2, 24, v2
	v_add_f64 v[48:49], v[48:49], v[130:131]
	v_add_f64 v[36:37], v[36:37], v[146:147]
	v_or_b32_e32 v2, v2, v73
	ds_write2_b64 v65, v[48:49], v[78:79] offset1:8
	ds_write_b64 v65, v[10:11] offset:128
	ds_write2_b64 v74, v[36:37], v[52:53] offset1:8
	ds_write_b64 v74, v[4:5] offset:128
	v_lshl_add_u32 v36, v2, 3, 0
	v_lshrrev_b32_e32 v2, 3, v141
	v_mul_u32_u24_e32 v2, 24, v2
	v_or_b32_e32 v2, v2, v73
	v_add_f64 v[24:25], v[24:25], v[154:155]
	v_add_f64 v[20:21], v[20:21], v[160:161]
	v_lshl_add_u32 v37, v2, 3, 0
	s_movk_i32 s4, 0xab
	v_add_f64 v[94:95], v[26:27], v[18:19]
	ds_write2_b64 v36, v[24:25], v[38:39] offset1:8
	ds_write_b64 v36, v[6:7] offset:128
	ds_write2_b64 v37, v[20:21], v[32:33] offset1:8
	ds_write_b64 v37, v[0:1] offset:128
	s_waitcnt lgkmcnt(0)
	; wave barrier
	s_waitcnt lgkmcnt(0)
	ds_read2_b64 v[4:7], v135 offset1:56
	ds_read2_b64 v[0:3], v135 offset0:112 offset1:168
	ds_read2_b64 v[48:51], v67 offset0:80 offset1:136
	;; [unrolled: 1-line block ×9, first 2 shown]
	ds_read_b64 v[52:53], v135 offset:8960
	s_waitcnt lgkmcnt(0)
	; wave barrier
	s_waitcnt lgkmcnt(0)
	ds_write2_b64 v98, v[58:59], v[62:63] offset1:8
	ds_write_b64 v98, v[60:61] offset:128
	ds_write2_b64 v99, v[68:69], v[56:57] offset1:8
	ds_write_b64 v99, v[42:43] offset:128
	;; [unrolled: 2-line block ×7, first 2 shown]
	v_mul_lo_u16_sdwa v28, v134, s4 dst_sel:DWORD dst_unused:UNUSED_PAD src0_sel:BYTE_0 src1_sel:DWORD
	v_lshrrev_b16_e32 v46, 12, v28
	v_mul_lo_u16_e32 v28, 24, v46
	v_sub_u16_e32 v47, v134, v28
	v_mov_b32_e32 v28, 6
	v_mul_u32_u24_sdwa v29, v47, v28 dst_sel:DWORD dst_unused:UNUSED_PAD src0_sel:BYTE_0 src1_sel:DWORD
	v_lshlrev_b32_e32 v29, 4, v29
	s_waitcnt lgkmcnt(0)
	; wave barrier
	s_waitcnt lgkmcnt(0)
	global_load_dwordx4 v[56:59], v29, s[8:9] offset:368
	v_mul_lo_u16_sdwa v34, v137, s4 dst_sel:DWORD dst_unused:UNUSED_PAD src0_sel:BYTE_0 src1_sel:DWORD
	v_lshrrev_b16_e32 v54, 12, v34
	v_mul_lo_u16_e32 v34, 24, v54
	v_sub_u16_e32 v55, v137, v34
	v_mul_u32_u24_sdwa v34, v55, v28 dst_sel:DWORD dst_unused:UNUSED_PAD src0_sel:BYTE_0 src1_sel:DWORD
	v_lshlrev_b32_e32 v34, 4, v34
	global_load_dwordx4 v[60:63], v34, s[8:9] offset:368
	global_load_dwordx4 v[74:77], v29, s[8:9] offset:352
	;; [unrolled: 1-line block ×11, first 2 shown]
	v_mul_lo_u16_sdwa v29, v136, s4 dst_sel:DWORD dst_unused:UNUSED_PAD src0_sel:BYTE_0 src1_sel:DWORD
	v_lshrrev_b16_e32 v73, 12, v29
	v_mul_lo_u16_e32 v29, 24, v73
	v_sub_u16_e32 v122, v136, v29
	v_mul_u32_u24_sdwa v28, v122, v28 dst_sel:DWORD dst_unused:UNUSED_PAD src0_sel:BYTE_0 src1_sel:DWORD
	v_lshlrev_b32_e32 v28, 4, v28
	global_load_dwordx4 v[114:117], v28, s[8:9] offset:352
	global_load_dwordx4 v[118:121], v28, s[8:9] offset:368
	;; [unrolled: 1-line block ×6, first 2 shown]
	ds_read2_b64 v[42:45], v135 offset1:56
	ds_read2_b64 v[34:37], v135 offset0:112 offset1:168
	ds_read2_b64 v[150:153], v67 offset0:80 offset1:136
	;; [unrolled: 1-line block ×7, first 2 shown]
	s_mov_b32 s4, 0x429ad128
	s_mov_b32 s5, 0xbfebfeb5
	;; [unrolled: 1-line block ×5, first 2 shown]
	s_waitcnt vmcnt(16) lgkmcnt(5)
	v_mul_f64 v[68:69], v[152:153], v[62:63]
	v_fmac_f64_e32 v[68:69], v[50:51], v[60:61]
	v_mul_f64 v[28:29], v[150:151], v[58:59]
	v_fmac_f64_e32 v[28:29], v[48:49], v[56:57]
	v_mul_f64 v[48:49], v[48:49], v[58:59]
	v_fma_f64 v[64:65], v[150:151], v[56:57], -v[48:49]
	v_mul_f64 v[56:57], v[50:51], v[62:63]
	s_waitcnt vmcnt(15)
	v_mul_f64 v[62:63], v[36:37], v[76:77]
	v_fmac_f64_e32 v[62:63], v[2:3], v[74:75]
	v_mul_f64 v[2:3], v[2:3], v[76:77]
	v_fma_f64 v[2:3], v[36:37], v[74:75], -v[2:3]
	s_waitcnt vmcnt(14) lgkmcnt(4)
	v_mul_f64 v[36:37], v[156:157], v[80:81]
	v_fmac_f64_e32 v[36:37], v[18:19], v[78:79]
	v_mul_f64 v[18:19], v[18:19], v[80:81]
	ds_read2_b64 v[48:51], v70 offset0:48 offset1:104
	v_fma_f64 v[74:75], v[156:157], v[78:79], -v[18:19]
	s_waitcnt vmcnt(12) lgkmcnt(3)
	v_mul_f64 v[78:79], v[164:165], v[88:89]
	v_mul_f64 v[76:77], v[158:159], v[84:85]
	;; [unrolled: 1-line block ×3, first 2 shown]
	v_fmac_f64_e32 v[78:79], v[14:15], v[86:87]
	v_mul_f64 v[14:15], v[14:15], v[88:89]
	v_fma_f64 v[60:61], v[152:153], v[60:61], -v[56:57]
	ds_read2_b64 v[56:59], v66 offset0:128 offset1:184
	v_fmac_f64_e32 v[76:77], v[38:39], v[82:83]
	v_fma_f64 v[38:39], v[158:159], v[82:83], -v[18:19]
	v_fma_f64 v[80:81], v[164:165], v[86:87], -v[14:15]
	s_waitcnt vmcnt(11) lgkmcnt(3)
	v_mul_f64 v[82:83], v[166:167], v[92:93]
	v_mul_f64 v[14:15], v[30:31], v[92:93]
	v_fmac_f64_e32 v[82:83], v[30:31], v[90:91]
	v_fma_f64 v[30:31], v[166:167], v[90:91], -v[14:15]
	s_waitcnt vmcnt(10)
	v_mul_f64 v[14:15], v[24:25], v[96:97]
	s_waitcnt lgkmcnt(2)
	v_fma_f64 v[86:87], v[170:171], v[94:95], -v[14:15]
	s_waitcnt vmcnt(9)
	v_mul_f64 v[14:15], v[20:21], v[100:101]
	s_waitcnt lgkmcnt(1)
	v_mul_f64 v[88:89], v[48:49], v[100:101]
	v_fma_f64 v[48:49], v[48:49], v[98:99], -v[14:15]
	s_waitcnt vmcnt(8)
	v_mul_f64 v[92:93], v[160:161], v[104:105]
	v_mul_f64 v[14:15], v[40:41], v[104:105]
	;; [unrolled: 1-line block ×3, first 2 shown]
	ds_read_b64 v[90:91], v135 offset:8960
	v_fmac_f64_e32 v[92:93], v[40:41], v[102:103]
	v_fma_f64 v[40:41], v[160:161], v[102:103], -v[14:15]
	s_waitcnt vmcnt(5)
	v_mul_f64 v[14:15], v[26:27], v[116:117]
	v_fmac_f64_e32 v[84:85], v[24:25], v[94:95]
	s_waitcnt lgkmcnt(1)
	v_mul_f64 v[94:95], v[56:57], v[108:109]
	v_fma_f64 v[18:19], v[172:173], v[114:115], -v[14:15]
	s_waitcnt vmcnt(4)
	v_mul_f64 v[14:15], v[154:155], v[120:121]
	v_fmac_f64_e32 v[94:95], v[8:9], v[106:107]
	v_mul_f64 v[8:9], v[8:9], v[108:109]
	v_fmac_f64_e32 v[14:15], v[16:17], v[118:119]
	;; [unrolled: 2-line block ×3, first 2 shown]
	v_fma_f64 v[56:57], v[56:57], v[106:107], -v[8:9]
	v_mul_f64 v[96:97], v[168:169], v[112:113]
	v_mul_f64 v[8:9], v[32:33], v[112:113]
	v_fma_f64 v[20:21], v[154:155], v[118:119], -v[16:17]
	s_waitcnt vmcnt(3)
	v_mul_f64 v[16:17], v[50:51], v[130:131]
	v_fmac_f64_e32 v[96:97], v[32:33], v[110:111]
	v_fma_f64 v[32:33], v[168:169], v[110:111], -v[8:9]
	v_mul_f64 v[8:9], v[172:173], v[116:117]
	v_fmac_f64_e32 v[16:17], v[22:23], v[128:129]
	v_mul_f64 v[22:23], v[22:23], v[130:131]
	v_fmac_f64_e32 v[8:9], v[26:27], v[114:115]
	v_fma_f64 v[22:23], v[50:51], v[128:129], -v[22:23]
	s_waitcnt vmcnt(1)
	v_mul_f64 v[26:27], v[58:59], v[144:145]
	s_waitcnt vmcnt(0) lgkmcnt(0)
	v_mul_f64 v[50:51], v[90:91], v[148:149]
	v_fmac_f64_e32 v[26:27], v[10:11], v[142:143]
	v_mul_f64 v[10:11], v[10:11], v[144:145]
	v_fmac_f64_e32 v[50:51], v[52:53], v[146:147]
	v_mul_f64 v[52:53], v[52:53], v[148:149]
	v_fma_f64 v[10:11], v[58:59], v[142:143], -v[10:11]
	v_fma_f64 v[52:53], v[90:91], v[146:147], -v[52:53]
	v_add_f64 v[58:59], v[62:63], v[82:83]
	v_add_f64 v[90:91], v[2:3], v[30:31]
	v_add_f64 v[62:63], v[62:63], -v[82:83]
	v_add_f64 v[2:3], v[2:3], -v[30:31]
	v_add_f64 v[30:31], v[28:29], v[78:79]
	v_add_f64 v[82:83], v[64:65], v[80:81]
	v_add_f64 v[28:29], v[28:29], -v[78:79]
	v_add_f64 v[64:65], v[64:65], -v[80:81]
	;; [unrolled: 4-line block ×4, first 2 shown]
	v_add_f64 v[58:59], v[58:59], -v[78:79]
	v_add_f64 v[90:91], v[90:91], -v[80:81]
	;; [unrolled: 1-line block ×4, first 2 shown]
	v_add_f64 v[102:103], v[36:37], v[28:29]
	v_add_f64 v[104:105], v[38:39], v[64:65]
	v_add_f64 v[106:107], v[36:37], -v[28:29]
	v_add_f64 v[108:109], v[38:39], -v[64:65]
	;; [unrolled: 1-line block ×4, first 2 shown]
	v_add_f64 v[74:75], v[78:79], v[74:75]
	v_add_f64 v[76:77], v[80:81], v[76:77]
	v_add_f64 v[36:37], v[62:63], -v[36:37]
	v_add_f64 v[38:39], v[2:3], -v[38:39]
	v_add_f64 v[62:63], v[102:103], v[62:63]
	v_add_f64 v[78:79], v[104:105], v[2:3]
	;; [unrolled: 1-line block ×4, first 2 shown]
	v_mul_f64 v[4:5], v[58:59], s[12:13]
	v_mul_f64 v[42:43], v[90:91], s[12:13]
	;; [unrolled: 1-line block ×8, first 2 shown]
	v_fma_f64 v[74:75], s[24:25], v[74:75], v[2:3]
	v_fma_f64 v[76:77], s[24:25], v[76:77], v[28:29]
	v_fma_f64 v[58:59], v[98:99], s[10:11], -v[58:59]
	v_fma_f64 v[80:81], v[100:101], s[10:11], -v[80:81]
	;; [unrolled: 1-line block ×3, first 2 shown]
	v_fmac_f64_e32 v[4:5], s[16:17], v[30:31]
	v_fma_f64 v[30:31], v[100:101], s[18:19], -v[42:43]
	v_fmac_f64_e32 v[42:43], s[16:17], v[82:83]
	v_fma_f64 v[82:83], v[110:111], s[4:5], -v[90:91]
	;; [unrolled: 2-line block ×4, first 2 shown]
	v_fma_f64 v[38:39], v[38:39], s[22:23], -v[106:107]
	v_add_f64 v[4:5], v[4:5], v[74:75]
	v_add_f64 v[42:43], v[42:43], v[76:77]
	;; [unrolled: 1-line block ×6, first 2 shown]
	v_fmac_f64_e32 v[90:91], s[20:21], v[62:63]
	v_fmac_f64_e32 v[82:83], s[20:21], v[62:63]
	;; [unrolled: 1-line block ×6, first 2 shown]
	v_add_f64 v[78:79], v[42:43], -v[90:91]
	v_add_f64 v[76:77], v[38:39], v[74:75]
	v_add_f64 v[98:99], v[30:31], -v[36:37]
	v_add_f64 v[100:101], v[58:59], -v[64:65]
	v_add_f64 v[104:105], v[82:83], v[80:81]
	v_add_f64 v[58:59], v[64:65], v[58:59]
	v_add_f64 v[64:65], v[80:81], -v[82:83]
	v_add_f64 v[38:39], v[74:75], -v[38:39]
	v_add_f64 v[30:31], v[36:37], v[30:31]
	v_add_f64 v[36:37], v[90:91], v[42:43]
	;; [unrolled: 1-line block ×4, first 2 shown]
	v_add_f64 v[80:81], v[84:85], -v[96:97]
	v_add_f64 v[82:83], v[68:69], v[94:95]
	v_add_f64 v[84:85], v[60:61], v[56:57]
	v_add_f64 v[32:33], v[86:87], -v[32:33]
	v_add_f64 v[68:69], v[68:69], -v[94:95]
	;; [unrolled: 1-line block ×3, first 2 shown]
	v_add_f64 v[60:61], v[88:89], v[92:93]
	v_add_f64 v[86:87], v[48:49], v[40:41]
	v_add_f64 v[88:89], v[92:93], -v[88:89]
	v_add_f64 v[40:41], v[40:41], -v[48:49]
	v_add_f64 v[48:49], v[82:83], v[42:43]
	v_add_f64 v[90:91], v[84:85], v[74:75]
	;; [unrolled: 1-line block ×3, first 2 shown]
	v_add_f64 v[4:5], v[4:5], -v[102:103]
	v_add_f64 v[92:93], v[82:83], -v[42:43]
	;; [unrolled: 1-line block ×7, first 2 shown]
	v_add_f64 v[96:97], v[88:89], v[68:69]
	v_add_f64 v[102:103], v[40:41], v[56:57]
	v_add_f64 v[106:107], v[88:89], -v[68:69]
	v_add_f64 v[108:109], v[40:41], -v[56:57]
	;; [unrolled: 1-line block ×4, first 2 shown]
	v_add_f64 v[48:49], v[60:61], v[48:49]
	v_add_f64 v[60:61], v[86:87], v[90:91]
	v_add_f64 v[88:89], v[80:81], -v[88:89]
	v_add_f64 v[40:41], v[32:33], -v[40:41]
	v_add_f64 v[80:81], v[96:97], v[80:81]
	v_add_f64 v[32:33], v[102:103], v[32:33]
	;; [unrolled: 1-line block ×4, first 2 shown]
	v_mul_f64 v[42:43], v[42:43], s[12:13]
	v_mul_f64 v[74:75], v[74:75], s[12:13]
	;; [unrolled: 1-line block ×9, first 2 shown]
	v_fma_f64 v[48:49], s[24:25], v[48:49], v[6:7]
	v_fma_f64 v[60:61], s[24:25], v[60:61], v[44:45]
	v_fma_f64 v[86:87], v[92:93], s[10:11], -v[86:87]
	v_fma_f64 v[90:91], v[94:95], s[10:11], -v[90:91]
	;; [unrolled: 1-line block ×3, first 2 shown]
	v_fmac_f64_e32 v[42:43], s[16:17], v[82:83]
	v_fma_f64 v[82:83], v[94:95], s[18:19], -v[74:75]
	v_fmac_f64_e32 v[74:75], s[16:17], v[84:85]
	v_fma_f64 v[56:57], v[56:57], s[4:5], -v[102:103]
	;; [unrolled: 2-line block ×3, first 2 shown]
	v_fma_f64 v[40:41], v[40:41], s[22:23], -v[108:109]
	v_fmac_f64_e32 v[24:25], v[12:13], v[138:139]
	v_mul_f64 v[12:13], v[12:13], v[140:141]
	v_fma_f64 v[68:69], v[68:69], s[4:5], -v[96:97]
	v_fmac_f64_e32 v[96:97], s[26:27], v[88:89]
	v_add_f64 v[42:43], v[42:43], v[48:49]
	v_add_f64 v[74:75], v[74:75], v[60:61]
	;; [unrolled: 1-line block ×6, first 2 shown]
	v_fmac_f64_e32 v[84:85], s[20:21], v[80:81]
	v_fmac_f64_e32 v[40:41], s[20:21], v[32:33]
	v_fma_f64 v[12:13], v[162:163], v[138:139], -v[12:13]
	v_add_f64 v[82:83], v[40:41], v[48:49]
	v_add_f64 v[90:91], v[60:61], -v[84:85]
	v_add_f64 v[40:41], v[48:49], -v[40:41]
	v_add_f64 v[84:85], v[84:85], v[60:61]
	v_add_f64 v[48:49], v[8:9], v[50:51]
	;; [unrolled: 1-line block ×3, first 2 shown]
	v_add_f64 v[8:9], v[8:9], -v[50:51]
	v_add_f64 v[18:19], v[18:19], -v[52:53]
	v_add_f64 v[50:51], v[14:15], v[26:27]
	v_add_f64 v[52:53], v[20:21], v[10:11]
	v_fmac_f64_e32 v[96:97], s[20:21], v[80:81]
	v_fmac_f64_e32 v[68:69], s[20:21], v[80:81]
	;; [unrolled: 1-line block ×3, first 2 shown]
	v_add_f64 v[14:15], v[14:15], -v[26:27]
	v_add_f64 v[10:11], v[20:21], -v[10:11]
	v_add_f64 v[20:21], v[16:17], v[24:25]
	v_add_f64 v[26:27], v[22:23], v[12:13]
	v_add_f64 v[16:17], v[24:25], -v[16:17]
	v_add_f64 v[12:13], v[12:13], -v[22:23]
	v_add_f64 v[22:23], v[50:51], v[48:49]
	v_add_f64 v[24:25], v[52:53], v[60:61]
	v_fmac_f64_e32 v[102:103], s[20:21], v[32:33]
	v_add_f64 v[80:81], v[74:75], -v[96:97]
	v_add_f64 v[92:93], v[86:87], -v[56:57]
	v_add_f64 v[94:95], v[68:69], v[88:89]
	v_add_f64 v[56:57], v[56:57], v[86:87]
	v_add_f64 v[68:69], v[88:89], -v[68:69]
	v_add_f64 v[86:87], v[96:97], v[74:75]
	v_add_f64 v[74:75], v[50:51], -v[48:49]
	v_add_f64 v[88:89], v[52:53], -v[60:61]
	;; [unrolled: 1-line block ×6, first 2 shown]
	v_add_f64 v[96:97], v[16:17], v[14:15]
	v_add_f64 v[106:107], v[16:17], -v[14:15]
	v_add_f64 v[14:15], v[14:15], -v[8:9]
	v_add_f64 v[20:21], v[20:21], v[22:23]
	v_add_f64 v[22:23], v[26:27], v[24:25]
	;; [unrolled: 1-line block ×3, first 2 shown]
	v_add_f64 v[42:43], v[42:43], -v[102:103]
	v_add_f64 v[102:103], v[12:13], v[10:11]
	v_add_f64 v[108:109], v[12:13], -v[10:11]
	v_add_f64 v[16:17], v[8:9], -v[16:17]
	v_add_f64 v[10:11], v[10:11], -v[18:19]
	v_add_f64 v[8:9], v[96:97], v[8:9]
	v_add_f64 v[34:35], v[34:35], v[22:23]
	v_mul_f64 v[24:25], v[48:49], s[12:13]
	v_mul_f64 v[26:27], v[60:61], s[12:13]
	;; [unrolled: 1-line block ×6, first 2 shown]
	v_add_f64 v[12:13], v[18:19], -v[12:13]
	v_add_f64 v[18:19], v[102:103], v[18:19]
	v_add_f64 v[0:1], v[0:1], v[20:21]
	v_mul_f64 v[102:103], v[108:109], s[14:15]
	v_mul_f64 v[108:109], v[10:11], s[4:5]
	v_fma_f64 v[22:23], s[24:25], v[22:23], v[34:35]
	v_fma_f64 v[48:49], v[74:75], s[10:11], -v[48:49]
	v_fma_f64 v[60:61], v[88:89], s[10:11], -v[60:61]
	;; [unrolled: 1-line block ×3, first 2 shown]
	v_fmac_f64_e32 v[24:25], s[16:17], v[50:51]
	v_fma_f64 v[50:51], v[88:89], s[18:19], -v[26:27]
	v_fmac_f64_e32 v[26:27], s[16:17], v[52:53]
	v_fma_f64 v[14:15], v[14:15], s[4:5], -v[96:97]
	;; [unrolled: 2-line block ×3, first 2 shown]
	v_fma_f64 v[20:21], s[24:25], v[20:21], v[0:1]
	v_fma_f64 v[10:11], v[10:11], s[4:5], -v[102:103]
	v_fmac_f64_e32 v[102:103], s[26:27], v[12:13]
	v_fma_f64 v[12:13], v[12:13], s[22:23], -v[108:109]
	v_add_f64 v[26:27], v[26:27], v[22:23]
	v_add_f64 v[52:53], v[60:61], v[22:23]
	v_add_f64 v[22:23], v[50:51], v[22:23]
	v_fmac_f64_e32 v[16:17], s[20:21], v[8:9]
	v_add_f64 v[24:25], v[24:25], v[20:21]
	v_add_f64 v[48:49], v[48:49], v[20:21]
	;; [unrolled: 1-line block ×3, first 2 shown]
	v_fmac_f64_e32 v[12:13], s[20:21], v[18:19]
	v_add_f64 v[88:89], v[22:23], -v[16:17]
	v_add_f64 v[108:109], v[16:17], v[22:23]
	v_mov_b32_e32 v17, 3
	v_fmac_f64_e32 v[102:103], s[20:21], v[18:19]
	v_fmac_f64_e32 v[10:11], s[20:21], v[18:19]
	v_add_f64 v[18:19], v[12:13], v[20:21]
	v_add_f64 v[12:13], v[20:21], -v[12:13]
	v_mul_u32_u24_e32 v16, 0x540, v46
	v_lshlrev_b32_sdwa v20, v17, v47 dst_sel:DWORD dst_unused:UNUSED_PAD src0_sel:DWORD src1_sel:BYTE_0
	v_add3_u32 v46, 0, v16, v20
	s_waitcnt lgkmcnt(0)
	; wave barrier
	ds_write2_b64 v46, v[2:3], v[62:63] offset1:24
	ds_write2_b64 v46, v[76:77], v[100:101] offset0:48 offset1:72
	ds_write2_b64 v46, v[58:59], v[38:39] offset0:96 offset1:120
	ds_write_b64 v46, v[4:5] offset:1152
	v_mul_u32_u24_e32 v2, 0x540, v54
	v_lshlrev_b32_sdwa v3, v17, v55 dst_sel:DWORD dst_unused:UNUSED_PAD src0_sel:DWORD src1_sel:BYTE_0
	v_fmac_f64_e32 v[14:15], s[20:21], v[8:9]
	v_add3_u32 v38, 0, v2, v3
	v_mul_u32_u24_e32 v2, 0x540, v73
	v_lshlrev_b32_sdwa v3, v17, v122 dst_sel:DWORD dst_unused:UNUSED_PAD src0_sel:DWORD src1_sel:BYTE_0
	v_fmac_f64_e32 v[96:97], s[20:21], v[8:9]
	v_add_f64 v[8:9], v[102:103], v[24:25]
	v_add_f64 v[60:61], v[48:49], -v[10:11]
	v_add_f64 v[106:107], v[14:15], v[52:53]
	v_add_f64 v[10:11], v[10:11], v[48:49]
	v_add_f64 v[52:53], v[52:53], -v[14:15]
	v_add_f64 v[14:15], v[24:25], -v[102:103]
	ds_write2_b64 v38, v[6:7], v[32:33] offset1:24
	ds_write2_b64 v38, v[82:83], v[92:93] offset0:48 offset1:72
	ds_write2_b64 v38, v[56:57], v[40:41] offset0:96 offset1:120
	ds_write_b64 v38, v[42:43] offset:1152
	v_add3_u32 v32, 0, v2, v3
	v_add_f64 v[50:51], v[26:27], -v[96:97]
	v_add_f64 v[96:97], v[96:97], v[26:27]
	ds_write2_b64 v32, v[0:1], v[8:9] offset1:24
	ds_write2_b64 v32, v[18:19], v[60:61] offset0:48 offset1:72
	ds_write2_b64 v32, v[10:11], v[12:13] offset0:96 offset1:120
	ds_write_b64 v32, v[14:15] offset:1152
	s_waitcnt lgkmcnt(0)
	; wave barrier
	s_waitcnt lgkmcnt(0)
	ds_read2_b64 v[0:3], v135 offset1:56
	ds_read2_b64 v[16:19], v135 offset0:112 offset1:168
	ds_read2_b64 v[12:15], v67 offset0:80 offset1:136
	;; [unrolled: 1-line block ×9, first 2 shown]
	ds_read_b64 v[48:49], v135 offset:8960
	s_waitcnt lgkmcnt(0)
	; wave barrier
	s_waitcnt lgkmcnt(0)
	ds_write2_b64 v46, v[28:29], v[78:79] offset1:24
	ds_write2_b64 v46, v[98:99], v[104:105] offset0:48 offset1:72
	ds_write2_b64 v46, v[64:65], v[30:31] offset0:96 offset1:120
	ds_write_b64 v46, v[36:37] offset:1152
	ds_write2_b64 v38, v[44:45], v[80:81] offset1:24
	ds_write2_b64 v38, v[90:91], v[94:95] offset0:48 offset1:72
	ds_write2_b64 v38, v[68:69], v[84:85] offset0:96 offset1:120
	ds_write_b64 v38, v[86:87] offset:1152
	;; [unrolled: 4-line block ×3, first 2 shown]
	s_waitcnt lgkmcnt(0)
	; wave barrier
	s_waitcnt lgkmcnt(0)
	s_and_saveexec_b64 s[28:29], s[0:1]
	s_cbranch_execz .LBB0_37
; %bb.36:
	v_mul_u32_u24_e32 v28, 6, v136
	v_lshlrev_b32_e32 v50, 4, v28
	global_load_dwordx4 v[28:31], v50, s[8:9] offset:2656
	global_load_dwordx4 v[44:47], v50, s[8:9] offset:2736
	;; [unrolled: 1-line block ×6, first 2 shown]
	v_mov_b32_e32 v83, 0xfffffeb0
	v_mov_b32_e32 v103, 0
	v_mad_u32_u24 v102, v136, 6, v83
	v_mul_lo_u32 v62, s3, v126
	v_mul_lo_u32 v63, s2, v127
	v_mad_u64_u32 v[104:105], s[0:1], s2, v126, 0
	v_add_u32_e32 v64, 0x400, v135
	v_add_u32_e32 v82, 0x1800, v135
	v_lshl_add_u64 v[92:93], v[102:103], 4, s[8:9]
	ds_read_b64 v[90:91], v135 offset:8960
	v_add_u32_e32 v137, 0x1000, v135
	v_add_u32_e32 v138, 0x800, v135
	ds_read2_b64 v[50:53], v135 offset0:112 offset1:168
	v_add3_u32 v105, v105, v63, v62
	ds_read2_b64 v[106:109], v64 offset0:96 offset1:152
	ds_read2_b64 v[66:69], v82 offset0:16 offset1:72
	;; [unrolled: 1-line block ×5, first 2 shown]
	global_load_dwordx4 v[82:85], v[92:93], off offset:2704
	global_load_dwordx4 v[86:89], v[92:93], off offset:2688
	;; [unrolled: 1-line block ×6, first 2 shown]
	s_mov_b32 s2, 0x18618619
	s_movk_i32 s3, 0xa8
	s_movk_i32 s0, 0x1000
	s_waitcnt vmcnt(11) lgkmcnt(4)
	v_mul_f64 v[92:93], v[30:31], v[108:109]
	s_waitcnt vmcnt(10)
	v_mul_f64 v[94:95], v[46:47], v[90:91]
	s_waitcnt vmcnt(9) lgkmcnt(3)
	v_mul_f64 v[96:97], v[34:35], v[66:67]
	s_waitcnt vmcnt(8) lgkmcnt(2)
	;; [unrolled: 2-line block ×4, first 2 shown]
	v_mul_f64 v[132:133], v[56:57], v[112:113]
	v_mul_f64 v[46:47], v[48:49], v[46:47]
	;; [unrolled: 1-line block ×7, first 2 shown]
	v_fmac_f64_e32 v[92:93], v[76:77], v[28:29]
	v_fmac_f64_e32 v[94:95], v[48:49], v[44:45]
	v_fmac_f64_e32 v[96:97], v[20:21], v[32:33]
	v_fmac_f64_e32 v[122:123], v[60:61], v[36:37]
	v_fmac_f64_e32 v[130:131], v[8:9], v[40:41]
	v_fmac_f64_e32 v[132:133], v[72:73], v[54:55]
	v_fma_f64 v[8:9], v[44:45], v[90:91], -v[46:47]
	v_fma_f64 v[20:21], v[28:29], v[108:109], -v[30:31]
	v_fma_f64 v[28:29], v[54:55], v[112:113], -v[56:57]
	v_fma_f64 v[40:41], v[40:41], v[62:63], -v[42:43]
	v_fma_f64 v[42:43], v[36:37], v[80:81], -v[38:39]
	v_fma_f64 v[32:33], v[32:33], v[66:67], -v[34:35]
	v_add_f64 v[34:35], v[92:93], -v[94:95]
	v_add_f64 v[30:31], v[96:97], -v[122:123]
	;; [unrolled: 1-line block ×3, first 2 shown]
	v_add_f64 v[46:47], v[20:21], v[8:9]
	v_add_f64 v[48:49], v[40:41], v[28:29]
	;; [unrolled: 1-line block ×5, first 2 shown]
	v_add_f64 v[62:63], v[34:35], -v[30:31]
	v_add_f64 v[38:39], v[30:31], -v[44:45]
	v_add_f64 v[30:31], v[30:31], v[44:45]
	v_add_f64 v[66:67], v[46:47], v[48:49]
	v_add_f64 v[60:61], v[96:97], v[122:123]
	v_add_f64 v[80:81], v[54:55], v[56:57]
	v_add_f64 v[92:93], v[34:35], v[30:31]
	v_add_f64 v[30:31], v[36:37], v[66:67]
	v_add_f64 v[76:77], v[36:37], -v[48:49]
	v_mul_f64 v[90:91], v[38:39], s[14:15]
	v_add_f64 v[80:81], v[60:61], v[80:81]
	v_add_f64 v[38:39], v[50:51], v[30:31]
	v_add_f64 v[72:73], v[46:47], -v[36:37]
	v_mul_f64 v[76:77], v[76:77], s[16:17]
	v_add_f64 v[36:37], v[16:17], v[80:81]
	v_mov_b64_e32 v[16:17], v[38:39]
	v_mul_f64 v[66:67], v[72:73], s[12:13]
	v_fma_f64 v[50:51], s[12:13], v[72:73], v[76:77]
	v_mov_b64_e32 v[72:73], v[36:37]
	v_fmac_f64_e32 v[16:17], s[24:25], v[30:31]
	v_add_f64 v[8:9], v[20:21], -v[8:9]
	v_add_f64 v[20:21], v[32:33], -v[42:43]
	;; [unrolled: 1-line block ×3, first 2 shown]
	v_fmac_f64_e32 v[72:73], s[24:25], v[80:81]
	v_add_f64 v[80:81], v[50:51], v[16:17]
	v_add_f64 v[50:51], v[54:55], -v[60:61]
	v_add_f64 v[60:61], v[60:61], -v[56:57]
	;; [unrolled: 1-line block ×4, first 2 shown]
	v_add_f64 v[20:21], v[20:21], v[40:41]
	v_mul_f64 v[60:61], v[60:61], s[16:17]
	v_add_f64 v[20:21], v[8:9], v[20:21]
	v_add_f64 v[42:43], v[44:45], -v[34:35]
	v_add_f64 v[8:9], v[40:41], -v[8:9]
	v_mul_f64 v[96:97], v[50:51], s[12:13]
	v_fma_f64 v[50:51], s[12:13], v[50:51], v[60:61]
	v_mul_f64 v[34:35], v[42:43], s[4:5]
	v_add_f64 v[44:45], v[48:49], -v[46:47]
	v_mul_f64 v[40:41], v[8:9], s[4:5]
	v_fma_f64 v[94:95], s[26:27], v[62:63], v[90:91]
	v_add_f64 v[108:109], v[50:51], v[72:73]
	v_mul_f64 v[50:51], v[28:29], s[14:15]
	v_fma_f64 v[62:63], v[62:63], s[22:23], -v[34:35]
	v_fma_f64 v[34:35], v[44:45], s[18:19], -v[66:67]
	v_add_f64 v[46:47], v[56:57], -v[54:55]
	v_fma_f64 v[56:57], v[32:33], s[22:23], -v[40:41]
	v_fma_f64 v[40:41], v[44:45], s[10:11], -v[76:77]
	v_add_f64 v[48:49], v[34:35], v[16:17]
	v_add_f64 v[16:17], v[40:41], v[16:17]
	v_fma_f64 v[44:45], v[42:43], s[4:5], -v[90:91]
	v_fma_f64 v[40:41], v[46:47], s[10:11], -v[60:61]
	;; [unrolled: 1-line block ×4, first 2 shown]
	v_fmac_f64_e32 v[44:45], s[20:21], v[92:93]
	v_add_f64 v[60:61], v[40:41], v[72:73]
	v_fmac_f64_e32 v[8:9], s[20:21], v[20:21]
	v_fmac_f64_e32 v[94:95], s[20:21], v[92:93]
	;; [unrolled: 1-line block ×3, first 2 shown]
	v_add_f64 v[54:55], v[54:55], v[72:73]
	v_fmac_f64_e32 v[56:57], s[20:21], v[20:21]
	v_add_f64 v[42:43], v[16:17], -v[44:45]
	v_add_f64 v[40:41], v[8:9], v[60:61]
	v_add_f64 v[46:47], v[44:45], v[16:17]
	v_add_f64 v[44:45], v[60:61], -v[8:9]
	v_add_u32_e32 v8, 0x1c00, v135
	v_add_f64 v[30:31], v[94:95], v[80:81]
	v_fma_f64 v[112:113], s[26:27], v[32:33], v[50:51]
	v_add_f64 v[34:35], v[62:63], v[48:49]
	v_add_f64 v[32:33], v[54:55], -v[56:57]
	v_add_f64 v[50:51], v[48:49], -v[62:63]
	v_add_f64 v[48:49], v[56:57], v[54:55]
	v_add_f64 v[56:57], v[80:81], -v[94:95]
	ds_read2_b64 v[90:93], v8 offset0:112 offset1:168
	ds_read2_b64 v[60:63], v137 offset0:160 offset1:216
	;; [unrolled: 1-line block ×3, first 2 shown]
	v_fmac_f64_e32 v[112:113], s[20:21], v[20:21]
	s_waitcnt vmcnt(2)
	v_mul_f64 v[8:9], v[120:121], v[106:107]
	s_waitcnt vmcnt(1) lgkmcnt(2)
	v_mul_f64 v[20:21], v[100:101], v[92:93]
	s_waitcnt lgkmcnt(1)
	v_mul_f64 v[72:73], v[84:85], v[62:63]
	v_mul_f64 v[76:77], v[88:89], v[78:79]
	s_waitcnt lgkmcnt(0)
	v_mul_f64 v[122:123], v[116:117], v[96:97]
	s_waitcnt vmcnt(0)
	v_mul_f64 v[130:131], v[128:129], v[110:111]
	v_fmac_f64_e32 v[8:9], v[74:75], v[118:119]
	v_fmac_f64_e32 v[20:21], v[26:27], v[98:99]
	;; [unrolled: 1-line block ×6, first 2 shown]
	v_add_f64 v[66:67], v[8:9], -v[20:21]
	v_add_f64 v[16:17], v[72:73], -v[76:77]
	;; [unrolled: 1-line block ×4, first 2 shown]
	v_add_f64 v[54:55], v[112:113], v[108:109]
	v_add_f64 v[80:81], v[66:67], -v[16:17]
	v_add_f64 v[108:109], v[16:17], -v[132:133]
	v_add_f64 v[140:141], v[16:17], v[132:133]
	v_mul_f64 v[16:17], v[26:27], v[100:101]
	v_fma_f64 v[26:27], v[98:99], v[92:93], -v[16:17]
	v_mul_f64 v[16:17], v[74:75], v[120:121]
	v_fma_f64 v[74:75], v[118:119], v[106:107], -v[16:17]
	;; [unrolled: 2-line block ×3, first 2 shown]
	v_mul_u32_u24_e32 v16, 6, v134
	v_mul_f64 v[14:15], v[14:15], v[116:117]
	v_lshlrev_b32_e32 v102, 4, v16
	v_mul_f64 v[16:17], v[58:59], v[88:89]
	v_mul_f64 v[136:137], v[108:109], s[14:15]
	ds_read2_b64 v[98:101], v135 offset1:56
	v_fma_f64 v[96:97], v[114:115], v[96:97], -v[14:15]
	global_load_dwordx4 v[106:109], v102, s[8:9] offset:2672
	global_load_dwordx4 v[110:113], v102, s[8:9] offset:2656
	;; [unrolled: 1-line block ×4, first 2 shown]
	v_fma_f64 v[58:59], v[86:87], v[78:79], -v[16:17]
	global_load_dwordx4 v[86:89], v102, s[8:9] offset:2704
	global_load_dwordx4 v[118:121], v102, s[8:9] offset:2688
	v_mul_f64 v[6:7], v[6:7], v[84:85]
	v_add_f64 v[92:93], v[74:75], v[26:27]
	v_add_f64 v[142:143], v[96:97], v[70:71]
	v_fma_f64 v[6:7], v[82:83], v[62:63], -v[6:7]
	v_add_f64 v[14:15], v[92:93], v[142:143]
	v_add_f64 v[62:63], v[6:7], v[58:59]
	v_add_f64 v[14:15], v[62:63], v[14:15]
	s_waitcnt lgkmcnt(0)
	v_add_f64 v[16:17], v[100:101], v[14:15]
	v_mov_b64_e32 v[78:79], v[16:17]
	v_add_f64 v[20:21], v[8:9], v[20:21]
	v_add_f64 v[84:85], v[122:123], v[130:131]
	v_fmac_f64_e32 v[78:79], s[24:25], v[14:15]
	v_add_f64 v[14:15], v[20:21], v[84:85]
	v_add_f64 v[72:73], v[72:73], v[76:77]
	;; [unrolled: 1-line block ×4, first 2 shown]
	v_add_f64 v[66:67], v[132:133], -v[66:67]
	v_add_f64 v[14:15], v[2:3], v[76:77]
	v_add_f64 v[26:27], v[74:75], -v[26:27]
	v_add_f64 v[6:7], v[6:7], -v[58:59]
	;; [unrolled: 1-line block ×4, first 2 shown]
	v_mul_f64 v[74:75], v[66:67], s[4:5]
	v_add_f64 v[72:73], v[72:73], -v[84:85]
	v_fma_f64 v[138:139], s[26:27], v[80:81], v[136:137]
	v_mov_b64_e32 v[2:3], v[14:15]
	v_fma_f64 v[96:97], v[80:81], s[22:23], -v[74:75]
	v_mul_f64 v[80:81], v[72:73], s[16:17]
	v_fmac_f64_e32 v[2:3], s[24:25], v[76:77]
	v_mul_f64 v[74:75], v[70:71], s[12:13]
	v_fma_f64 v[70:71], s[12:13], v[70:71], v[80:81]
	v_add_f64 v[72:73], v[26:27], -v[6:7]
	v_add_f64 v[20:21], v[84:85], -v[20:21]
	;; [unrolled: 1-line block ×3, first 2 shown]
	v_add_f64 v[6:7], v[6:7], v[58:59]
	v_add_f64 v[8:9], v[92:93], -v[62:63]
	v_add_f64 v[62:63], v[62:63], -v[142:143]
	v_add_f64 v[122:123], v[70:71], v[2:3]
	v_add_f64 v[70:71], v[142:143], -v[92:93]
	v_add_f64 v[92:93], v[26:27], v[6:7]
	v_add_f64 v[26:27], v[58:59], -v[26:27]
	v_mul_f64 v[76:77], v[8:9], s[12:13]
	v_mul_f64 v[62:63], v[62:63], s[16:17]
	;; [unrolled: 1-line block ×4, first 2 shown]
	v_fma_f64 v[8:9], s[12:13], v[8:9], v[62:63]
	v_fma_f64 v[58:59], v[72:73], s[22:23], -v[6:7]
	v_fma_f64 v[130:131], s[26:27], v[72:73], v[84:85]
	v_fma_f64 v[72:73], v[70:71], s[18:19], -v[76:77]
	v_fma_f64 v[62:63], v[70:71], s[10:11], -v[62:63]
	;; [unrolled: 1-line block ×4, first 2 shown]
	v_add_f64 v[140:141], v[70:71], v[2:3]
	v_fma_f64 v[66:67], v[66:67], s[4:5], -v[136:137]
	v_add_f64 v[2:3], v[20:21], v[2:3]
	v_fma_f64 v[20:21], v[26:27], s[4:5], -v[84:85]
	v_fmac_f64_e32 v[138:139], s[20:21], v[82:83]
	v_add_f64 v[100:101], v[8:9], v[78:79]
	v_fmac_f64_e32 v[96:97], s[20:21], v[82:83]
	v_add_f64 v[132:133], v[72:73], v[78:79]
	v_add_f64 v[62:63], v[62:63], v[78:79]
	v_fmac_f64_e32 v[66:67], s[20:21], v[82:83]
	v_fmac_f64_e32 v[20:21], s[20:21], v[92:93]
	v_add_f64 v[8:9], v[138:139], v[100:101]
	v_add_f64 v[72:73], v[96:97], v[132:133]
	v_add_f64 v[76:77], v[62:63], -v[66:67]
	v_add_f64 v[74:75], v[20:21], v[2:3]
	v_add_f64 v[80:81], v[66:67], v[62:63]
	v_add_f64 v[78:79], v[2:3], -v[20:21]
	v_add_f64 v[84:85], v[132:133], -v[96:97]
	;; [unrolled: 1-line block ×3, first 2 shown]
	v_fmac_f64_e32 v[130:131], s[20:21], v[92:93]
	v_fmac_f64_e32 v[58:59], s[20:21], v[92:93]
	s_waitcnt vmcnt(5)
	v_mul_f64 v[96:97], v[108:109], v[94:95]
	s_waitcnt vmcnt(4)
	v_mul_f64 v[20:21], v[112:113], v[52:53]
	;; [unrolled: 2-line block ×4, first 2 shown]
	v_fmac_f64_e32 v[20:21], v[18:19], v[110:111]
	s_waitcnt vmcnt(1)
	v_mul_f64 v[62:63], v[88:89], v[60:61]
	s_waitcnt vmcnt(0)
	v_mul_f64 v[66:67], v[120:121], v[64:65]
	v_fmac_f64_e32 v[26:27], v[24:25], v[114:115]
	v_fmac_f64_e32 v[62:63], v[4:5], v[86:87]
	;; [unrolled: 1-line block ×5, first 2 shown]
	v_add_f64 v[6:7], v[122:123], -v[130:131]
	v_add_f64 v[70:71], v[140:141], -v[58:59]
	v_add_f64 v[82:83], v[58:59], v[140:141]
	v_add_f64 v[130:131], v[130:131], v[122:123]
	v_add_f64 v[58:59], v[20:21], -v[26:27]
	v_add_f64 v[2:3], v[62:63], -v[66:67]
	;; [unrolled: 1-line block ×4, first 2 shown]
	v_mul_f64 v[24:25], v[24:25], v[116:117]
	v_add_f64 v[116:117], v[2:3], -v[122:123]
	v_add_f64 v[2:3], v[2:3], v[122:123]
	v_fma_f64 v[24:25], v[114:115], v[90:91], -v[24:25]
	v_add_f64 v[114:115], v[58:59], v[2:3]
	v_mul_f64 v[2:3], v[18:19], v[112:113]
	v_fma_f64 v[18:19], v[110:111], v[52:53], -v[2:3]
	v_mul_f64 v[2:3], v[22:23], v[128:129]
	v_fma_f64 v[22:23], v[126:127], v[68:69], -v[2:3]
	;; [unrolled: 2-line block ×3, first 2 shown]
	v_mul_f64 v[10:11], v[10:11], v[120:121]
	v_mul_f64 v[4:5], v[4:5], v[88:89]
	v_add_f64 v[52:53], v[18:19], v[24:25]
	v_add_f64 v[94:95], v[68:69], v[22:23]
	v_fma_f64 v[10:11], v[118:119], v[64:65], -v[10:11]
	v_fma_f64 v[4:5], v[86:87], v[60:61], -v[4:5]
	v_add_f64 v[2:3], v[52:53], v[94:95]
	v_add_f64 v[12:13], v[4:5], v[10:11]
	;; [unrolled: 1-line block ×4, first 2 shown]
	v_mov_b64_e32 v[64:65], v[2:3]
	v_fmac_f64_e32 v[64:65], s[24:25], v[60:61]
	v_add_f64 v[60:61], v[52:53], -v[12:13]
	v_add_f64 v[12:13], v[12:13], -v[94:95]
	v_mul_f64 v[88:89], v[12:13], s[16:17]
	v_mul_f64 v[86:87], v[60:61], s[12:13]
	v_fma_f64 v[12:13], s[12:13], v[60:61], v[88:89]
	v_add_f64 v[26:27], v[20:21], v[26:27]
	v_add_f64 v[60:61], v[96:97], v[100:101]
	;; [unrolled: 1-line block ×6, first 2 shown]
	v_mov_b64_e32 v[66:67], v[0:1]
	v_add_f64 v[18:19], v[18:19], -v[24:25]
	v_add_f64 v[4:5], v[4:5], -v[10:11]
	;; [unrolled: 1-line block ×3, first 2 shown]
	v_fmac_f64_e32 v[66:67], s[24:25], v[20:21]
	v_add_f64 v[20:21], v[26:27], -v[62:63]
	v_add_f64 v[62:63], v[62:63], -v[60:61]
	;; [unrolled: 1-line block ×4, first 2 shown]
	v_add_f64 v[4:5], v[4:5], v[22:23]
	v_add_f64 v[22:23], v[22:23], -v[18:19]
	v_mul_f64 v[96:97], v[20:21], s[12:13]
	v_mul_f64 v[62:63], v[62:63], s[16:17]
	;; [unrolled: 1-line block ×3, first 2 shown]
	v_add_f64 v[4:5], v[18:19], v[4:5]
	v_add_f64 v[26:27], v[60:61], -v[26:27]
	v_mul_f64 v[18:19], v[22:23], s[4:5]
	v_fma_f64 v[20:21], s[12:13], v[20:21], v[62:63]
	v_fma_f64 v[106:107], s[26:27], v[24:25], v[68:69]
	v_fma_f64 v[60:61], v[26:27], s[18:19], -v[96:97]
	v_fma_f64 v[96:97], v[24:25], s[22:23], -v[18:19]
	;; [unrolled: 1-line block ×4, first 2 shown]
	v_fmac_f64_e32 v[106:107], s[20:21], v[4:5]
	v_fmac_f64_e32 v[96:97], s[20:21], v[4:5]
	v_fmac_f64_e32 v[62:63], s[20:21], v[4:5]
	v_lshrrev_b32_e32 v4, 3, v134
	v_mul_f64 v[116:117], v[116:117], s[14:15]
	v_add_f64 v[58:59], v[122:123], -v[58:59]
	v_add_f64 v[52:53], v[94:95], -v[52:53]
	v_mul_hi_u32 v4, v4, s2
	v_add_f64 v[100:101], v[20:21], v[66:67]
	v_mul_f64 v[20:21], v[58:59], s[4:5]
	v_fma_f64 v[24:25], v[52:53], s[10:11], -v[88:89]
	v_fma_f64 v[58:59], v[58:59], s[4:5], -v[116:117]
	v_lshrrev_b32_e32 v4, 1, v4
	v_fma_f64 v[90:91], s[26:27], v[92:93], v[116:117]
	v_fma_f64 v[92:93], v[92:93], s[22:23], -v[20:21]
	v_fma_f64 v[20:21], v[52:53], s[18:19], -v[86:87]
	v_add_f64 v[52:53], v[24:25], v[64:65]
	v_fmac_f64_e32 v[58:59], s[20:21], v[114:115]
	v_add_f64 v[26:27], v[26:27], v[66:67]
	v_mul_lo_u32 v4, v4, s3
	v_add_f64 v[94:95], v[60:61], v[66:67]
	v_add_f64 v[24:25], v[52:53], -v[58:59]
	v_add_f64 v[22:23], v[62:63], v[26:27]
	v_add_f64 v[60:61], v[58:59], v[52:53]
	v_add_f64 v[58:59], v[26:27], -v[62:63]
	v_sub_u32_e32 v26, v134, v4
	v_lshl_add_u64 v[4:5], v[104:105], 4, s[6:7]
	v_lshl_add_u64 v[4:5], v[124:125], 4, v[4:5]
	v_lshlrev_b32_e32 v102, 4, v26
	v_fmac_f64_e32 v[90:91], s[20:21], v[114:115]
	v_add_f64 v[98:99], v[12:13], v[64:65]
	v_lshl_add_u64 v[26:27], v[4:5], 0, v[102:103]
	v_fmac_f64_e32 v[92:93], s[20:21], v[114:115]
	v_add_f64 v[86:87], v[20:21], v[64:65]
	v_add_f64 v[68:69], v[98:99], -v[90:91]
	v_add_f64 v[66:67], v[106:107], v[100:101]
	global_store_dwordx4 v[26:27], v[0:3], off
	global_store_dwordx4 v[26:27], v[66:69], off offset:2688
	v_add_f64 v[64:65], v[86:87], -v[92:93]
	v_add_co_u32_e32 v0, vcc, s0, v26
	v_add_f64 v[62:63], v[96:97], v[94:95]
	s_nop 0
	v_addc_co_u32_e32 v1, vcc, 0, v27, vcc
	s_movk_i32 s0, 0x2000
	global_store_dwordx4 v[0:1], v[62:65], off offset:1280
	global_store_dwordx4 v[0:1], v[58:61], off offset:3968
	v_add_co_u32_e32 v0, vcc, s0, v26
	s_movk_i32 s0, 0x3000
	s_nop 0
	v_addc_co_u32_e32 v1, vcc, 0, v27, vcc
	global_store_dwordx4 v[0:1], v[22:25], off offset:2560
	v_add_co_u32_e32 v0, vcc, s0, v26
	v_add_f64 v[20:21], v[92:93], v[86:87]
	v_add_f64 v[18:19], v[94:95], -v[96:97]
	v_addc_co_u32_e32 v1, vcc, 0, v27, vcc
	v_add_f64 v[12:13], v[90:91], v[98:99]
	v_add_f64 v[10:11], v[100:101], -v[106:107]
	global_store_dwordx4 v[0:1], v[18:21], off offset:1152
	global_store_dwordx4 v[0:1], v[10:13], off offset:3840
	v_add_u32_e32 v0, 56, v134
	v_lshrrev_b32_e32 v1, 3, v0
	v_mul_hi_u32 v1, v1, s2
	v_lshrrev_b32_e32 v1, 1, v1
	v_mul_lo_u32 v2, v1, s3
	v_sub_u32_e32 v0, v0, v2
	s_movk_i32 s4, 0x498
	v_mad_u64_u32 v[0:1], s[0:1], v1, s4, v[0:1]
	v_mov_b32_e32 v1, v103
	v_lshl_add_u64 v[2:3], v[0:1], 4, v[4:5]
	v_add_u32_e32 v102, 0xa8, v0
	global_store_dwordx4 v[2:3], v[14:17], off
	v_lshl_add_u64 v[2:3], v[102:103], 4, v[4:5]
	v_add_u32_e32 v102, 0x150, v0
	global_store_dwordx4 v[2:3], v[130:133], off
	;; [unrolled: 3-line block ×5, first 2 shown]
	v_lshl_add_u64 v[2:3], v[102:103], 4, v[4:5]
	v_add_u32_e32 v102, 0x3f0, v0
	v_lshl_add_u64 v[0:1], v[102:103], 4, v[4:5]
	global_store_dwordx4 v[0:1], v[6:9], off
	v_add_u32_e32 v0, 0x70, v134
	v_lshrrev_b32_e32 v1, 3, v0
	v_mul_hi_u32 v1, v1, s2
	v_lshrrev_b32_e32 v1, 1, v1
	global_store_dwordx4 v[2:3], v[70:73], off
	v_mul_lo_u32 v2, v1, s3
	v_sub_u32_e32 v0, v0, v2
	v_mad_u64_u32 v[0:1], s[0:1], v1, s4, v[0:1]
	v_mov_b32_e32 v1, v103
	v_lshl_add_u64 v[2:3], v[0:1], 4, v[4:5]
	v_add_u32_e32 v102, 0xa8, v0
	global_store_dwordx4 v[2:3], v[36:39], off
	v_lshl_add_u64 v[2:3], v[102:103], 4, v[4:5]
	v_add_u32_e32 v102, 0x150, v0
	global_store_dwordx4 v[2:3], v[54:57], off
	;; [unrolled: 3-line block ×5, first 2 shown]
	v_lshl_add_u64 v[2:3], v[102:103], 4, v[4:5]
	v_add_u32_e32 v102, 0x3f0, v0
	v_lshl_add_u64 v[0:1], v[102:103], 4, v[4:5]
	global_store_dwordx4 v[2:3], v[32:35], off
	global_store_dwordx4 v[0:1], v[28:31], off
.LBB0_37:
	s_endpgm
	.section	.rodata,"a",@progbits
	.p2align	6, 0x0
	.amdhsa_kernel fft_rtc_back_len1176_factors_2_2_2_3_7_7_wgs_56_tpt_56_halfLds_dp_op_CI_CI_unitstride_sbrr_dirReg
		.amdhsa_group_segment_fixed_size 0
		.amdhsa_private_segment_fixed_size 0
		.amdhsa_kernarg_size 104
		.amdhsa_user_sgpr_count 2
		.amdhsa_user_sgpr_dispatch_ptr 0
		.amdhsa_user_sgpr_queue_ptr 0
		.amdhsa_user_sgpr_kernarg_segment_ptr 1
		.amdhsa_user_sgpr_dispatch_id 0
		.amdhsa_user_sgpr_kernarg_preload_length 0
		.amdhsa_user_sgpr_kernarg_preload_offset 0
		.amdhsa_user_sgpr_private_segment_size 0
		.amdhsa_uses_dynamic_stack 0
		.amdhsa_enable_private_segment 0
		.amdhsa_system_sgpr_workgroup_id_x 1
		.amdhsa_system_sgpr_workgroup_id_y 0
		.amdhsa_system_sgpr_workgroup_id_z 0
		.amdhsa_system_sgpr_workgroup_info 0
		.amdhsa_system_vgpr_workitem_id 0
		.amdhsa_next_free_vgpr 174
		.amdhsa_next_free_sgpr 30
		.amdhsa_accum_offset 176
		.amdhsa_reserve_vcc 1
		.amdhsa_float_round_mode_32 0
		.amdhsa_float_round_mode_16_64 0
		.amdhsa_float_denorm_mode_32 3
		.amdhsa_float_denorm_mode_16_64 3
		.amdhsa_dx10_clamp 1
		.amdhsa_ieee_mode 1
		.amdhsa_fp16_overflow 0
		.amdhsa_tg_split 0
		.amdhsa_exception_fp_ieee_invalid_op 0
		.amdhsa_exception_fp_denorm_src 0
		.amdhsa_exception_fp_ieee_div_zero 0
		.amdhsa_exception_fp_ieee_overflow 0
		.amdhsa_exception_fp_ieee_underflow 0
		.amdhsa_exception_fp_ieee_inexact 0
		.amdhsa_exception_int_div_zero 0
	.end_amdhsa_kernel
	.text
.Lfunc_end0:
	.size	fft_rtc_back_len1176_factors_2_2_2_3_7_7_wgs_56_tpt_56_halfLds_dp_op_CI_CI_unitstride_sbrr_dirReg, .Lfunc_end0-fft_rtc_back_len1176_factors_2_2_2_3_7_7_wgs_56_tpt_56_halfLds_dp_op_CI_CI_unitstride_sbrr_dirReg
                                        ; -- End function
	.section	.AMDGPU.csdata,"",@progbits
; Kernel info:
; codeLenInByte = 13888
; NumSgprs: 36
; NumVgprs: 174
; NumAgprs: 0
; TotalNumVgprs: 174
; ScratchSize: 0
; MemoryBound: 1
; FloatMode: 240
; IeeeMode: 1
; LDSByteSize: 0 bytes/workgroup (compile time only)
; SGPRBlocks: 4
; VGPRBlocks: 21
; NumSGPRsForWavesPerEU: 36
; NumVGPRsForWavesPerEU: 174
; AccumOffset: 176
; Occupancy: 2
; WaveLimiterHint : 1
; COMPUTE_PGM_RSRC2:SCRATCH_EN: 0
; COMPUTE_PGM_RSRC2:USER_SGPR: 2
; COMPUTE_PGM_RSRC2:TRAP_HANDLER: 0
; COMPUTE_PGM_RSRC2:TGID_X_EN: 1
; COMPUTE_PGM_RSRC2:TGID_Y_EN: 0
; COMPUTE_PGM_RSRC2:TGID_Z_EN: 0
; COMPUTE_PGM_RSRC2:TIDIG_COMP_CNT: 0
; COMPUTE_PGM_RSRC3_GFX90A:ACCUM_OFFSET: 43
; COMPUTE_PGM_RSRC3_GFX90A:TG_SPLIT: 0
	.text
	.p2alignl 6, 3212836864
	.fill 256, 4, 3212836864
	.type	__hip_cuid_f187a1dd2b7eece0,@object ; @__hip_cuid_f187a1dd2b7eece0
	.section	.bss,"aw",@nobits
	.globl	__hip_cuid_f187a1dd2b7eece0
__hip_cuid_f187a1dd2b7eece0:
	.byte	0                               ; 0x0
	.size	__hip_cuid_f187a1dd2b7eece0, 1

	.ident	"AMD clang version 19.0.0git (https://github.com/RadeonOpenCompute/llvm-project roc-6.4.0 25133 c7fe45cf4b819c5991fe208aaa96edf142730f1d)"
	.section	".note.GNU-stack","",@progbits
	.addrsig
	.addrsig_sym __hip_cuid_f187a1dd2b7eece0
	.amdgpu_metadata
---
amdhsa.kernels:
  - .agpr_count:     0
    .args:
      - .actual_access:  read_only
        .address_space:  global
        .offset:         0
        .size:           8
        .value_kind:     global_buffer
      - .offset:         8
        .size:           8
        .value_kind:     by_value
      - .actual_access:  read_only
        .address_space:  global
        .offset:         16
        .size:           8
        .value_kind:     global_buffer
      - .actual_access:  read_only
        .address_space:  global
        .offset:         24
        .size:           8
        .value_kind:     global_buffer
      - .actual_access:  read_only
        .address_space:  global
        .offset:         32
        .size:           8
        .value_kind:     global_buffer
      - .offset:         40
        .size:           8
        .value_kind:     by_value
      - .actual_access:  read_only
        .address_space:  global
        .offset:         48
        .size:           8
        .value_kind:     global_buffer
      - .actual_access:  read_only
        .address_space:  global
        .offset:         56
        .size:           8
        .value_kind:     global_buffer
      - .offset:         64
        .size:           4
        .value_kind:     by_value
      - .actual_access:  read_only
        .address_space:  global
        .offset:         72
        .size:           8
        .value_kind:     global_buffer
      - .actual_access:  read_only
        .address_space:  global
        .offset:         80
        .size:           8
        .value_kind:     global_buffer
      - .actual_access:  read_only
        .address_space:  global
        .offset:         88
        .size:           8
        .value_kind:     global_buffer
      - .actual_access:  write_only
        .address_space:  global
        .offset:         96
        .size:           8
        .value_kind:     global_buffer
    .group_segment_fixed_size: 0
    .kernarg_segment_align: 8
    .kernarg_segment_size: 104
    .language:       OpenCL C
    .language_version:
      - 2
      - 0
    .max_flat_workgroup_size: 56
    .name:           fft_rtc_back_len1176_factors_2_2_2_3_7_7_wgs_56_tpt_56_halfLds_dp_op_CI_CI_unitstride_sbrr_dirReg
    .private_segment_fixed_size: 0
    .sgpr_count:     36
    .sgpr_spill_count: 0
    .symbol:         fft_rtc_back_len1176_factors_2_2_2_3_7_7_wgs_56_tpt_56_halfLds_dp_op_CI_CI_unitstride_sbrr_dirReg.kd
    .uniform_work_group_size: 1
    .uses_dynamic_stack: false
    .vgpr_count:     174
    .vgpr_spill_count: 0
    .wavefront_size: 64
amdhsa.target:   amdgcn-amd-amdhsa--gfx950
amdhsa.version:
  - 1
  - 2
...

	.end_amdgpu_metadata
